;; amdgpu-corpus repo=ROCm/rocFFT kind=compiled arch=gfx906 opt=O3
	.text
	.amdgcn_target "amdgcn-amd-amdhsa--gfx906"
	.amdhsa_code_object_version 6
	.protected	fft_rtc_back_len1625_factors_13_5_5_5_wgs_130_tpt_65_halfLds_dp_ip_CI_sbrr_dirReg ; -- Begin function fft_rtc_back_len1625_factors_13_5_5_5_wgs_130_tpt_65_halfLds_dp_ip_CI_sbrr_dirReg
	.globl	fft_rtc_back_len1625_factors_13_5_5_5_wgs_130_tpt_65_halfLds_dp_ip_CI_sbrr_dirReg
	.p2align	8
	.type	fft_rtc_back_len1625_factors_13_5_5_5_wgs_130_tpt_65_halfLds_dp_ip_CI_sbrr_dirReg,@function
fft_rtc_back_len1625_factors_13_5_5_5_wgs_130_tpt_65_halfLds_dp_ip_CI_sbrr_dirReg: ; @fft_rtc_back_len1625_factors_13_5_5_5_wgs_130_tpt_65_halfLds_dp_ip_CI_sbrr_dirReg
; %bb.0:
	s_load_dwordx2 s[14:15], s[4:5], 0x18
	s_load_dwordx4 s[8:11], s[4:5], 0x0
	s_load_dwordx2 s[12:13], s[4:5], 0x50
	v_mul_u32_u24_e32 v1, 0x3f1, v0
	v_lshrrev_b32_e32 v107, 16, v1
	s_waitcnt lgkmcnt(0)
	s_load_dwordx2 s[2:3], s[14:15], 0x0
	v_cmp_lt_u64_e64 s[0:1], s[10:11], 2
	v_mov_b32_e32 v3, 0
	v_mov_b32_e32 v1, 0
	v_lshl_add_u32 v5, s6, 1, v107
	v_mov_b32_e32 v6, v3
	s_and_b64 vcc, exec, s[0:1]
	v_mov_b32_e32 v2, 0
	s_cbranch_vccnz .LBB0_8
; %bb.1:
	s_load_dwordx2 s[0:1], s[4:5], 0x10
	s_add_u32 s6, s14, 8
	s_addc_u32 s7, s15, 0
	v_mov_b32_e32 v1, 0
	v_mov_b32_e32 v2, 0
	s_waitcnt lgkmcnt(0)
	s_add_u32 s16, s0, 8
	s_addc_u32 s17, s1, 0
	s_mov_b64 s[18:19], 1
.LBB0_2:                                ; =>This Inner Loop Header: Depth=1
	s_load_dwordx2 s[20:21], s[16:17], 0x0
                                        ; implicit-def: $vgpr7_vgpr8
	s_waitcnt lgkmcnt(0)
	v_or_b32_e32 v4, s21, v6
	v_cmp_ne_u64_e32 vcc, 0, v[3:4]
	s_and_saveexec_b64 s[0:1], vcc
	s_xor_b64 s[22:23], exec, s[0:1]
	s_cbranch_execz .LBB0_4
; %bb.3:                                ;   in Loop: Header=BB0_2 Depth=1
	v_cvt_f32_u32_e32 v4, s20
	v_cvt_f32_u32_e32 v7, s21
	s_sub_u32 s0, 0, s20
	s_subb_u32 s1, 0, s21
	v_mac_f32_e32 v4, 0x4f800000, v7
	v_rcp_f32_e32 v4, v4
	v_mul_f32_e32 v4, 0x5f7ffffc, v4
	v_mul_f32_e32 v7, 0x2f800000, v4
	v_trunc_f32_e32 v7, v7
	v_mac_f32_e32 v4, 0xcf800000, v7
	v_cvt_u32_f32_e32 v7, v7
	v_cvt_u32_f32_e32 v4, v4
	v_mul_lo_u32 v8, s0, v7
	v_mul_hi_u32 v9, s0, v4
	v_mul_lo_u32 v11, s1, v4
	v_mul_lo_u32 v10, s0, v4
	v_add_u32_e32 v8, v9, v8
	v_add_u32_e32 v8, v8, v11
	v_mul_hi_u32 v9, v4, v10
	v_mul_lo_u32 v11, v4, v8
	v_mul_hi_u32 v13, v4, v8
	v_mul_hi_u32 v12, v7, v10
	v_mul_lo_u32 v10, v7, v10
	v_mul_hi_u32 v14, v7, v8
	v_add_co_u32_e32 v9, vcc, v9, v11
	v_addc_co_u32_e32 v11, vcc, 0, v13, vcc
	v_mul_lo_u32 v8, v7, v8
	v_add_co_u32_e32 v9, vcc, v9, v10
	v_addc_co_u32_e32 v9, vcc, v11, v12, vcc
	v_addc_co_u32_e32 v10, vcc, 0, v14, vcc
	v_add_co_u32_e32 v8, vcc, v9, v8
	v_addc_co_u32_e32 v9, vcc, 0, v10, vcc
	v_add_co_u32_e32 v4, vcc, v4, v8
	v_addc_co_u32_e32 v7, vcc, v7, v9, vcc
	v_mul_lo_u32 v8, s0, v7
	v_mul_hi_u32 v9, s0, v4
	v_mul_lo_u32 v10, s1, v4
	v_mul_lo_u32 v11, s0, v4
	v_add_u32_e32 v8, v9, v8
	v_add_u32_e32 v8, v8, v10
	v_mul_lo_u32 v12, v4, v8
	v_mul_hi_u32 v13, v4, v11
	v_mul_hi_u32 v14, v4, v8
	v_mul_hi_u32 v10, v7, v11
	v_mul_lo_u32 v11, v7, v11
	v_mul_hi_u32 v9, v7, v8
	v_add_co_u32_e32 v12, vcc, v13, v12
	v_addc_co_u32_e32 v13, vcc, 0, v14, vcc
	v_mul_lo_u32 v8, v7, v8
	v_add_co_u32_e32 v11, vcc, v12, v11
	v_addc_co_u32_e32 v10, vcc, v13, v10, vcc
	v_addc_co_u32_e32 v9, vcc, 0, v9, vcc
	v_add_co_u32_e32 v8, vcc, v10, v8
	v_addc_co_u32_e32 v9, vcc, 0, v9, vcc
	v_add_co_u32_e32 v4, vcc, v4, v8
	v_addc_co_u32_e32 v9, vcc, v7, v9, vcc
	v_mad_u64_u32 v[7:8], s[0:1], v5, v9, 0
	v_mul_hi_u32 v10, v5, v4
	v_add_co_u32_e32 v11, vcc, v10, v7
	v_addc_co_u32_e32 v12, vcc, 0, v8, vcc
	v_mad_u64_u32 v[7:8], s[0:1], v6, v4, 0
	v_mad_u64_u32 v[9:10], s[0:1], v6, v9, 0
	v_add_co_u32_e32 v4, vcc, v11, v7
	v_addc_co_u32_e32 v4, vcc, v12, v8, vcc
	v_addc_co_u32_e32 v7, vcc, 0, v10, vcc
	v_add_co_u32_e32 v4, vcc, v4, v9
	v_addc_co_u32_e32 v9, vcc, 0, v7, vcc
	v_mul_lo_u32 v10, s21, v4
	v_mul_lo_u32 v11, s20, v9
	v_mad_u64_u32 v[7:8], s[0:1], s20, v4, 0
	v_add3_u32 v8, v8, v11, v10
	v_sub_u32_e32 v10, v6, v8
	v_mov_b32_e32 v11, s21
	v_sub_co_u32_e32 v7, vcc, v5, v7
	v_subb_co_u32_e64 v10, s[0:1], v10, v11, vcc
	v_subrev_co_u32_e64 v11, s[0:1], s20, v7
	v_subbrev_co_u32_e64 v10, s[0:1], 0, v10, s[0:1]
	v_cmp_le_u32_e64 s[0:1], s21, v10
	v_cndmask_b32_e64 v12, 0, -1, s[0:1]
	v_cmp_le_u32_e64 s[0:1], s20, v11
	v_cndmask_b32_e64 v11, 0, -1, s[0:1]
	v_cmp_eq_u32_e64 s[0:1], s21, v10
	v_cndmask_b32_e64 v10, v12, v11, s[0:1]
	v_add_co_u32_e64 v11, s[0:1], 2, v4
	v_addc_co_u32_e64 v12, s[0:1], 0, v9, s[0:1]
	v_add_co_u32_e64 v13, s[0:1], 1, v4
	v_addc_co_u32_e64 v14, s[0:1], 0, v9, s[0:1]
	v_subb_co_u32_e32 v8, vcc, v6, v8, vcc
	v_cmp_ne_u32_e64 s[0:1], 0, v10
	v_cmp_le_u32_e32 vcc, s21, v8
	v_cndmask_b32_e64 v10, v14, v12, s[0:1]
	v_cndmask_b32_e64 v12, 0, -1, vcc
	v_cmp_le_u32_e32 vcc, s20, v7
	v_cndmask_b32_e64 v7, 0, -1, vcc
	v_cmp_eq_u32_e32 vcc, s21, v8
	v_cndmask_b32_e32 v7, v12, v7, vcc
	v_cmp_ne_u32_e32 vcc, 0, v7
	v_cndmask_b32_e64 v7, v13, v11, s[0:1]
	v_cndmask_b32_e32 v8, v9, v10, vcc
	v_cndmask_b32_e32 v7, v4, v7, vcc
.LBB0_4:                                ;   in Loop: Header=BB0_2 Depth=1
	s_andn2_saveexec_b64 s[0:1], s[22:23]
	s_cbranch_execz .LBB0_6
; %bb.5:                                ;   in Loop: Header=BB0_2 Depth=1
	v_cvt_f32_u32_e32 v4, s20
	s_sub_i32 s22, 0, s20
	v_rcp_iflag_f32_e32 v4, v4
	v_mul_f32_e32 v4, 0x4f7ffffe, v4
	v_cvt_u32_f32_e32 v4, v4
	v_mul_lo_u32 v7, s22, v4
	v_mul_hi_u32 v7, v4, v7
	v_add_u32_e32 v4, v4, v7
	v_mul_hi_u32 v4, v5, v4
	v_mul_lo_u32 v7, v4, s20
	v_add_u32_e32 v8, 1, v4
	v_sub_u32_e32 v7, v5, v7
	v_subrev_u32_e32 v9, s20, v7
	v_cmp_le_u32_e32 vcc, s20, v7
	v_cndmask_b32_e32 v7, v7, v9, vcc
	v_cndmask_b32_e32 v4, v4, v8, vcc
	v_add_u32_e32 v8, 1, v4
	v_cmp_le_u32_e32 vcc, s20, v7
	v_cndmask_b32_e32 v7, v4, v8, vcc
	v_mov_b32_e32 v8, v3
.LBB0_6:                                ;   in Loop: Header=BB0_2 Depth=1
	s_or_b64 exec, exec, s[0:1]
	v_mul_lo_u32 v4, v8, s20
	v_mul_lo_u32 v11, v7, s21
	v_mad_u64_u32 v[9:10], s[0:1], v7, s20, 0
	s_load_dwordx2 s[0:1], s[6:7], 0x0
	s_add_u32 s18, s18, 1
	v_add3_u32 v4, v10, v11, v4
	v_sub_co_u32_e32 v5, vcc, v5, v9
	v_subb_co_u32_e32 v4, vcc, v6, v4, vcc
	s_waitcnt lgkmcnt(0)
	v_mul_lo_u32 v4, s0, v4
	v_mul_lo_u32 v6, s1, v5
	v_mad_u64_u32 v[1:2], s[0:1], s0, v5, v[1:2]
	s_addc_u32 s19, s19, 0
	s_add_u32 s6, s6, 8
	v_add3_u32 v2, v6, v2, v4
	v_mov_b32_e32 v4, s10
	v_mov_b32_e32 v5, s11
	s_addc_u32 s7, s7, 0
	v_cmp_ge_u64_e32 vcc, s[18:19], v[4:5]
	s_add_u32 s16, s16, 8
	s_addc_u32 s17, s17, 0
	s_cbranch_vccnz .LBB0_9
; %bb.7:                                ;   in Loop: Header=BB0_2 Depth=1
	v_mov_b32_e32 v5, v7
	v_mov_b32_e32 v6, v8
	s_branch .LBB0_2
.LBB0_8:
	v_mov_b32_e32 v8, v6
	v_mov_b32_e32 v7, v5
.LBB0_9:
	s_lshl_b64 s[0:1], s[10:11], 3
	s_add_u32 s0, s14, s0
	s_addc_u32 s1, s15, s1
	s_load_dwordx2 s[6:7], s[0:1], 0x0
	s_load_dwordx2 s[10:11], s[4:5], 0x20
                                        ; implicit-def: $vgpr66_vgpr67
                                        ; implicit-def: $vgpr62_vgpr63
                                        ; implicit-def: $vgpr54_vgpr55
                                        ; implicit-def: $vgpr34_vgpr35
                                        ; implicit-def: $vgpr26_vgpr27
                                        ; implicit-def: $vgpr10_vgpr11
                                        ; implicit-def: $vgpr18_vgpr19
                                        ; implicit-def: $vgpr22_vgpr23
                                        ; implicit-def: $vgpr30_vgpr31
                                        ; implicit-def: $vgpr38_vgpr39
                                        ; implicit-def: $vgpr14_vgpr15
                                        ; implicit-def: $vgpr98_vgpr99
                                        ; implicit-def: $vgpr94_vgpr95
                                        ; implicit-def: $vgpr102_vgpr103
                                        ; implicit-def: $vgpr82_vgpr83
                                        ; implicit-def: $vgpr74_vgpr75
                                        ; implicit-def: $vgpr42_vgpr43
                                        ; implicit-def: $vgpr46_vgpr47
                                        ; implicit-def: $vgpr50_vgpr51
                                        ; implicit-def: $vgpr70_vgpr71
                                        ; implicit-def: $vgpr78_vgpr79
                                        ; implicit-def: $vgpr86_vgpr87
                                        ; implicit-def: $vgpr90_vgpr91
                                        ; implicit-def: $vgpr58_vgpr59
	s_waitcnt lgkmcnt(0)
	v_mad_u64_u32 v[1:2], s[0:1], s6, v7, v[1:2]
	v_mul_lo_u32 v3, s6, v8
	v_mul_lo_u32 v4, s7, v7
	s_mov_b32 s0, 0x3f03f04
	v_mul_hi_u32 v5, v0, s0
	v_cmp_gt_u64_e32 vcc, s[10:11], v[7:8]
	v_add3_u32 v2, v4, v2, v3
	v_lshlrev_b64 v[104:105], 4, v[1:2]
	v_mul_u32_u24_e32 v3, 0x41, v5
	v_sub_u32_e32 v106, v0, v3
                                        ; implicit-def: $vgpr6_vgpr7
                                        ; implicit-def: $vgpr2_vgpr3
	s_and_saveexec_b64 s[4:5], vcc
	s_cbranch_execz .LBB0_13
; %bb.10:
	v_mad_u64_u32 v[0:1], s[0:1], s2, v106, 0
	v_add_u32_e32 v5, 0x7d, v106
	v_mov_b32_e32 v4, s13
	v_mad_u64_u32 v[1:2], s[0:1], s3, v106, v[1:2]
	v_mad_u64_u32 v[2:3], s[0:1], s2, v5, 0
	v_add_co_u32_e64 v66, s[0:1], s12, v104
	v_addc_co_u32_e64 v67, s[0:1], v4, v105, s[0:1]
	v_lshlrev_b64 v[0:1], 4, v[0:1]
	v_mad_u64_u32 v[3:4], s[0:1], s3, v5, v[3:4]
	v_add_co_u32_e64 v0, s[0:1], v66, v0
	v_add_u32_e32 v6, 0xfa, v106
	v_addc_co_u32_e64 v1, s[0:1], v67, v1, s[0:1]
	v_mad_u64_u32 v[4:5], s[0:1], s2, v6, 0
	v_lshlrev_b64 v[2:3], 4, v[2:3]
	v_add_u32_e32 v8, 0x177, v106
	v_add_co_u32_e64 v2, s[0:1], v66, v2
	v_addc_co_u32_e64 v3, s[0:1], v67, v3, s[0:1]
	v_mad_u64_u32 v[5:6], s[0:1], s3, v6, v[5:6]
	v_mad_u64_u32 v[6:7], s[0:1], s2, v8, 0
	global_load_dwordx4 v[56:59], v[0:1], off
	global_load_dwordx4 v[88:91], v[2:3], off
	v_lshlrev_b64 v[0:1], 4, v[4:5]
	v_mov_b32_e32 v2, v7
	v_mad_u64_u32 v[2:3], s[0:1], s3, v8, v[2:3]
	v_add_co_u32_e64 v0, s[0:1], v66, v0
	v_mov_b32_e32 v7, v2
	v_lshlrev_b64 v[2:3], 4, v[6:7]
	v_add_u32_e32 v6, 0x1f4, v106
	v_addc_co_u32_e64 v1, s[0:1], v67, v1, s[0:1]
	v_mad_u64_u32 v[4:5], s[0:1], s2, v6, 0
	v_add_co_u32_e64 v2, s[0:1], v66, v2
	v_addc_co_u32_e64 v3, s[0:1], v67, v3, s[0:1]
	v_mad_u64_u32 v[5:6], s[0:1], s3, v6, v[5:6]
	v_add_u32_e32 v8, 0x271, v106
	v_mad_u64_u32 v[6:7], s[0:1], s2, v8, 0
	global_load_dwordx4 v[84:87], v[0:1], off
	global_load_dwordx4 v[76:79], v[2:3], off
	v_lshlrev_b64 v[0:1], 4, v[4:5]
	v_mov_b32_e32 v2, v7
	v_mad_u64_u32 v[2:3], s[0:1], s3, v8, v[2:3]
	v_add_co_u32_e64 v0, s[0:1], v66, v0
	v_mov_b32_e32 v7, v2
	v_lshlrev_b64 v[2:3], 4, v[6:7]
	v_add_u32_e32 v6, 0x2ee, v106
	v_addc_co_u32_e64 v1, s[0:1], v67, v1, s[0:1]
	v_mad_u64_u32 v[4:5], s[0:1], s2, v6, 0
	v_add_co_u32_e64 v2, s[0:1], v66, v2
	v_addc_co_u32_e64 v3, s[0:1], v67, v3, s[0:1]
	v_mad_u64_u32 v[5:6], s[0:1], s3, v6, v[5:6]
	v_add_u32_e32 v8, 0x36b, v106
	;; [unrolled: 16-line block ×4, first 2 shown]
	v_mad_u64_u32 v[6:7], s[0:1], s2, v8, 0
	global_load_dwordx4 v[72:75], v[0:1], off
	global_load_dwordx4 v[80:83], v[2:3], off
	v_lshlrev_b64 v[0:1], 4, v[4:5]
	v_mov_b32_e32 v2, v7
	v_mad_u64_u32 v[2:3], s[0:1], s3, v8, v[2:3]
	v_add_u32_e32 v8, 0x5dc, v106
	v_mad_u64_u32 v[3:4], s[0:1], s2, v8, 0
	v_add_co_u32_e64 v0, s[0:1], v66, v0
	v_mov_b32_e32 v7, v2
	v_mov_b32_e32 v2, v4
	v_addc_co_u32_e64 v1, s[0:1], v67, v1, s[0:1]
	v_lshlrev_b64 v[5:6], 4, v[6:7]
	v_mad_u64_u32 v[7:8], s[0:1], s3, v8, v[2:3]
	v_add_co_u32_e64 v4, s[0:1], v66, v5
	v_addc_co_u32_e64 v5, s[0:1], v67, v6, s[0:1]
	global_load_dwordx4 v[100:103], v[0:1], off
	global_load_dwordx4 v[92:95], v[4:5], off
	v_mov_b32_e32 v4, v7
	v_lshlrev_b64 v[0:1], 4, v[3:4]
                                        ; implicit-def: $vgpr12_vgpr13
                                        ; implicit-def: $vgpr36_vgpr37
                                        ; implicit-def: $vgpr28_vgpr29
                                        ; implicit-def: $vgpr20_vgpr21
                                        ; implicit-def: $vgpr16_vgpr17
                                        ; implicit-def: $vgpr8_vgpr9
                                        ; implicit-def: $vgpr4_vgpr5
                                        ; implicit-def: $vgpr24_vgpr25
                                        ; implicit-def: $vgpr32_vgpr33
                                        ; implicit-def: $vgpr52_vgpr53
                                        ; implicit-def: $vgpr60_vgpr61
                                        ; implicit-def: $vgpr64_vgpr65
	v_add_co_u32_e64 v0, s[0:1], v66, v0
	v_addc_co_u32_e64 v1, s[0:1], v67, v1, s[0:1]
	global_load_dwordx4 v[96:99], v[0:1], off
	v_cmp_gt_u32_e64 s[0:1], 60, v106
                                        ; implicit-def: $vgpr0_vgpr1
	s_and_saveexec_b64 s[6:7], s[0:1]
	s_cbranch_execz .LBB0_12
; %bb.11:
	v_add_u32_e32 v4, 0x41, v106
	v_add_u32_e32 v6, 0xbe, v106
	v_mad_u64_u32 v[0:1], s[0:1], s2, v4, 0
	v_mad_u64_u32 v[2:3], s[0:1], s2, v6, 0
	v_add_u32_e32 v8, 0x1b8, v106
	v_add_u32_e32 v24, 0x3ac, v106
	v_mad_u64_u32 v[4:5], s[0:1], s3, v4, v[1:2]
	v_add_u32_e32 v65, 0x5a0, v106
	v_mov_b32_e32 v1, v4
	v_lshlrev_b64 v[0:1], 4, v[0:1]
	v_mad_u64_u32 v[3:4], s[0:1], s3, v6, v[3:4]
	v_add_co_u32_e64 v0, s[0:1], v66, v0
	v_add_u32_e32 v6, 0x13b, v106
	v_addc_co_u32_e64 v1, s[0:1], v67, v1, s[0:1]
	v_mad_u64_u32 v[4:5], s[0:1], s2, v6, 0
	v_lshlrev_b64 v[2:3], 4, v[2:3]
	v_add_co_u32_e64 v2, s[0:1], v66, v2
	v_addc_co_u32_e64 v3, s[0:1], v67, v3, s[0:1]
	v_mad_u64_u32 v[5:6], s[0:1], s3, v6, v[5:6]
	v_mad_u64_u32 v[6:7], s[0:1], s2, v8, 0
	global_load_dwordx4 v[12:15], v[0:1], off
	global_load_dwordx4 v[36:39], v[2:3], off
	v_lshlrev_b64 v[0:1], 4, v[4:5]
	v_mov_b32_e32 v2, v7
	v_mad_u64_u32 v[2:3], s[0:1], s3, v8, v[2:3]
	v_add_co_u32_e64 v0, s[0:1], v66, v0
	v_mov_b32_e32 v7, v2
	v_lshlrev_b64 v[2:3], 4, v[6:7]
	v_add_u32_e32 v6, 0x235, v106
	v_addc_co_u32_e64 v1, s[0:1], v67, v1, s[0:1]
	v_mad_u64_u32 v[4:5], s[0:1], s2, v6, 0
	v_add_co_u32_e64 v2, s[0:1], v66, v2
	v_addc_co_u32_e64 v3, s[0:1], v67, v3, s[0:1]
	v_mad_u64_u32 v[5:6], s[0:1], s3, v6, v[5:6]
	v_add_u32_e32 v8, 0x2b2, v106
	v_mad_u64_u32 v[6:7], s[0:1], s2, v8, 0
	global_load_dwordx4 v[28:31], v[0:1], off
	global_load_dwordx4 v[20:23], v[2:3], off
	v_lshlrev_b64 v[0:1], 4, v[4:5]
	v_mov_b32_e32 v2, v7
	v_mad_u64_u32 v[2:3], s[0:1], s3, v8, v[2:3]
	v_add_co_u32_e64 v0, s[0:1], v66, v0
	v_mov_b32_e32 v7, v2
	v_lshlrev_b64 v[2:3], 4, v[6:7]
	v_add_u32_e32 v6, 0x32f, v106
	v_addc_co_u32_e64 v1, s[0:1], v67, v1, s[0:1]
	v_mad_u64_u32 v[4:5], s[0:1], s2, v6, 0
	v_add_co_u32_e64 v2, s[0:1], v66, v2
	v_addc_co_u32_e64 v3, s[0:1], v67, v3, s[0:1]
	v_mad_u64_u32 v[5:6], s[0:1], s3, v6, v[5:6]
	v_mad_u64_u32 v[6:7], s[0:1], s2, v24, 0
	global_load_dwordx4 v[16:19], v[0:1], off
	global_load_dwordx4 v[8:11], v[2:3], off
	v_lshlrev_b64 v[0:1], 4, v[4:5]
	v_mov_b32_e32 v2, v7
	v_mad_u64_u32 v[2:3], s[0:1], s3, v24, v[2:3]
	v_add_co_u32_e64 v24, s[0:1], v66, v0
	v_mov_b32_e32 v7, v2
	v_add_u32_e32 v2, 0x429, v106
	v_addc_co_u32_e64 v25, s[0:1], v67, v1, s[0:1]
	v_mad_u64_u32 v[26:27], s[0:1], s2, v2, 0
	v_lshlrev_b64 v[0:1], 4, v[6:7]
	v_add_co_u32_e64 v32, s[0:1], v66, v0
	v_mov_b32_e32 v0, v27
	v_addc_co_u32_e64 v33, s[0:1], v67, v1, s[0:1]
	v_mad_u64_u32 v[34:35], s[0:1], s3, v2, v[0:1]
	v_add_u32_e32 v35, 0x4a6, v106
	v_mad_u64_u32 v[52:53], s[0:1], s2, v35, 0
	v_mov_b32_e32 v27, v34
	global_load_dwordx4 v[0:3], v[24:25], off
	global_load_dwordx4 v[4:7], v[32:33], off
	v_lshlrev_b64 v[24:25], 4, v[26:27]
	v_mov_b32_e32 v26, v53
	v_mad_u64_u32 v[26:27], s[0:1], s3, v35, v[26:27]
	v_add_co_u32_e64 v54, s[0:1], v66, v24
	v_mov_b32_e32 v53, v26
	v_add_u32_e32 v26, 0x523, v106
	v_addc_co_u32_e64 v55, s[0:1], v67, v25, s[0:1]
	v_lshlrev_b64 v[24:25], 4, v[52:53]
	v_mad_u64_u32 v[52:53], s[0:1], s2, v26, 0
	v_add_co_u32_e64 v60, s[0:1], v66, v24
	v_mov_b32_e32 v24, v53
	v_addc_co_u32_e64 v61, s[0:1], v67, v25, s[0:1]
	v_mad_u64_u32 v[62:63], s[0:1], s3, v26, v[24:25]
	v_mad_u64_u32 v[63:64], s[0:1], s2, v65, 0
	global_load_dwordx4 v[24:27], v[54:55], off
	global_load_dwordx4 v[32:35], v[60:61], off
	v_mov_b32_e32 v53, v62
	v_mov_b32_e32 v54, v64
	v_mad_u64_u32 v[54:55], s[0:1], s3, v65, v[54:55]
	v_add_u32_e32 v55, 0x61d, v106
	v_mad_u64_u32 v[108:109], s[0:1], s2, v55, 0
	v_lshlrev_b64 v[52:53], 4, v[52:53]
	v_mov_b32_e32 v64, v54
	v_add_co_u32_e64 v110, s[0:1], v66, v52
	v_mov_b32_e32 v54, v109
	v_addc_co_u32_e64 v111, s[0:1], v67, v53, s[0:1]
	v_lshlrev_b64 v[52:53], 4, v[63:64]
	v_mad_u64_u32 v[64:65], s[0:1], s3, v55, v[54:55]
	v_add_co_u32_e64 v112, s[0:1], v66, v52
	v_mov_b32_e32 v109, v64
	v_lshlrev_b64 v[64:65], 4, v[108:109]
	v_addc_co_u32_e64 v113, s[0:1], v67, v53, s[0:1]
	v_add_co_u32_e64 v64, s[0:1], v66, v64
	v_addc_co_u32_e64 v65, s[0:1], v67, v65, s[0:1]
	global_load_dwordx4 v[52:55], v[110:111], off
	global_load_dwordx4 v[60:63], v[112:113], off
	s_nop 0
	global_load_dwordx4 v[64:67], v[64:65], off
.LBB0_12:
	s_or_b64 exec, exec, s[6:7]
.LBB0_13:
	s_or_b64 exec, exec, s[4:5]
	s_waitcnt vmcnt(11)
	v_add_f64 v[108:109], v[88:89], v[56:57]
	v_and_b32_e32 v118, 1, v107
	s_waitcnt vmcnt(0)
	v_add_f64 v[112:113], v[90:91], -v[98:99]
	s_mov_b32 s38, 0x4267c47c
	v_mov_b32_e32 v119, 0x659
	s_mov_b32 s39, 0xbfddbe06
	v_cmp_eq_u32_e64 s[0:1], 1, v118
	v_add_f64 v[110:111], v[96:97], v[88:89]
	v_add_f64 v[107:108], v[84:85], v[108:109]
	v_add_f64 v[116:117], v[86:87], -v[94:95]
	s_mov_b32 s10, 0xe00740e9
	s_mov_b32 s22, 0x42a4c3d2
	;; [unrolled: 1-line block ×6, first 2 shown]
	v_add_f64 v[107:108], v[76:77], v[107:108]
	s_mov_b32 s11, 0x3fec55a7
	s_mov_b32 s23, 0xbfea55e2
	;; [unrolled: 1-line block ×6, first 2 shown]
	v_add_f64 v[114:115], v[92:93], v[84:85]
	v_add_f64 v[107:108], v[68:69], v[107:108]
	v_mul_f64 v[120:121], v[112:113], s[22:23]
	v_mul_f64 v[122:123], v[112:113], s[30:31]
	;; [unrolled: 1-line block ×5, first 2 shown]
	s_mov_b32 s4, 0x1ea71119
	s_mov_b32 s6, 0xebaa3ed8
	v_add_f64 v[107:108], v[48:49], v[107:108]
	s_mov_b32 s14, 0xb2365da1
	s_mov_b32 s18, 0xd0032e0c
	;; [unrolled: 1-line block ×7, first 2 shown]
	v_add_f64 v[108:109], v[44:45], v[107:108]
	v_cndmask_b32_e64 v107, 0, v119, s[0:1]
	v_mul_f64 v[118:119], v[112:113], s[38:39]
	v_mul_f64 v[112:113], v[112:113], s[28:29]
	s_mov_b32 s27, 0xbfef11f4
	v_mul_f64 v[130:131], v[116:117], s[16:17]
	v_mul_f64 v[132:133], v[116:117], s[28:29]
	v_fma_f64 v[138:139], v[110:111], s[4:5], v[120:121]
	v_add_f64 v[108:109], v[40:41], v[108:109]
	v_fma_f64 v[120:121], v[110:111], s[4:5], -v[120:121]
	v_fma_f64 v[136:137], v[110:111], s[10:11], v[118:119]
	v_fma_f64 v[118:119], v[110:111], s[10:11], -v[118:119]
	v_fma_f64 v[140:141], v[110:111], s[6:7], v[122:123]
	;; [unrolled: 2-line block ×3, first 2 shown]
	v_fma_f64 v[124:125], v[110:111], s[14:15], -v[124:125]
	v_add_f64 v[108:109], v[72:73], v[108:109]
	v_fma_f64 v[144:145], v[110:111], s[18:19], v[126:127]
	v_fma_f64 v[126:127], v[110:111], s[18:19], -v[126:127]
	v_fma_f64 v[146:147], v[110:111], s[26:27], v[112:113]
	v_fma_f64 v[110:111], v[110:111], s[26:27], -v[112:113]
	;; [unrolled: 2-line block ×3, first 2 shown]
	v_add_f64 v[136:137], v[56:57], v[136:137]
	v_add_f64 v[108:109], v[80:81], v[108:109]
	;; [unrolled: 1-line block ×3, first 2 shown]
	s_mov_b32 s37, 0x3fe5384d
	s_mov_b32 s25, 0x3fefc445
	;; [unrolled: 1-line block ×4, first 2 shown]
	v_mul_f64 v[134:135], v[116:117], s[36:37]
	v_fma_f64 v[148:149], v[114:115], s[14:15], v[130:131]
	v_add_f64 v[108:109], v[100:101], v[108:109]
	v_fma_f64 v[130:131], v[114:115], s[14:15], -v[130:131]
	v_fma_f64 v[150:151], v[114:115], s[26:27], v[132:133]
	v_add_f64 v[138:139], v[56:57], v[138:139]
	v_add_f64 v[120:121], v[56:57], v[120:121]
	;; [unrolled: 1-line block ×14, first 2 shown]
	v_mul_f64 v[108:109], v[116:117], s[24:25]
	s_mov_b32 s35, 0x3fddbe06
	s_mov_b32 s34, s38
	v_add_f64 v[128:129], v[148:149], v[138:139]
	v_add_f64 v[120:121], v[130:131], v[120:121]
	;; [unrolled: 1-line block ×3, first 2 shown]
	v_fma_f64 v[132:133], v[114:115], s[26:27], -v[132:133]
	v_fma_f64 v[136:137], v[114:115], s[18:19], v[134:135]
	v_add_f64 v[138:139], v[78:79], -v[102:103]
	v_fma_f64 v[140:141], v[114:115], s[6:7], v[108:109]
	v_fma_f64 v[108:109], v[114:115], s[6:7], -v[108:109]
	v_mul_f64 v[116:117], v[116:117], s[34:35]
	v_fma_f64 v[134:135], v[114:115], s[18:19], -v[134:135]
	v_add_f64 v[148:149], v[100:101], v[76:77]
	v_add_f64 v[122:123], v[132:133], v[122:123]
	;; [unrolled: 1-line block ×3, first 2 shown]
	v_mul_f64 v[150:151], v[138:139], s[30:31]
	v_mul_f64 v[136:137], v[138:139], s[28:29]
	v_add_f64 v[108:109], v[108:109], v[126:127]
	v_fma_f64 v[126:127], v[114:115], s[10:11], v[116:117]
	v_fma_f64 v[114:115], v[114:115], s[10:11], -v[116:117]
	s_mov_b32 s45, 0x3fedeba7
	s_mov_b32 s44, s16
	v_add_f64 v[124:125], v[134:135], v[124:125]
	v_add_f64 v[134:135], v[140:141], v[144:145]
	v_fma_f64 v[116:117], v[148:149], s[6:7], v[150:151]
	v_fma_f64 v[140:141], v[148:149], s[6:7], -v[150:151]
	v_mul_f64 v[142:143], v[138:139], s[44:45]
	v_add_f64 v[56:57], v[114:115], v[56:57]
	v_mul_f64 v[114:115], v[138:139], s[34:35]
	v_fma_f64 v[144:145], v[148:149], s[26:27], v[136:137]
	v_fma_f64 v[136:137], v[148:149], s[26:27], -v[136:137]
	v_add_f64 v[126:127], v[126:127], v[146:147]
	v_add_f64 v[110:111], v[116:117], v[110:111]
	;; [unrolled: 1-line block ×3, first 2 shown]
	v_fma_f64 v[116:117], v[148:149], s[14:15], v[142:143]
	v_fma_f64 v[140:141], v[148:149], s[14:15], -v[142:143]
	v_mul_f64 v[142:143], v[138:139], s[22:23]
	v_fma_f64 v[146:147], v[148:149], s[10:11], v[114:115]
	v_add_f64 v[120:121], v[136:137], v[120:121]
	v_add_f64 v[136:137], v[70:71], -v[82:83]
	v_fma_f64 v[114:115], v[148:149], s[10:11], -v[114:115]
	v_mul_f64 v[138:139], v[138:139], s[20:21]
	v_add_f64 v[128:129], v[144:145], v[128:129]
	v_add_f64 v[116:117], v[116:117], v[130:131]
	;; [unrolled: 1-line block ×3, first 2 shown]
	v_fma_f64 v[130:131], v[148:149], s[4:5], v[142:143]
	v_add_f64 v[140:141], v[80:81], v[68:69]
	v_mul_f64 v[144:145], v[136:137], s[16:17]
	v_add_f64 v[114:115], v[114:115], v[124:125]
	v_fma_f64 v[124:125], v[148:149], s[4:5], -v[142:143]
	v_mul_f64 v[142:143], v[136:137], s[36:37]
	v_add_f64 v[132:133], v[146:147], v[132:133]
	v_fma_f64 v[146:147], v[148:149], s[18:19], v[138:139]
	v_fma_f64 v[138:139], v[148:149], s[18:19], -v[138:139]
	v_add_f64 v[130:131], v[130:131], v[134:135]
	v_mul_f64 v[134:135], v[136:137], s[34:35]
	v_fma_f64 v[148:149], v[140:141], s[14:15], v[144:145]
	v_fma_f64 v[144:145], v[140:141], s[14:15], -v[144:145]
	v_add_f64 v[108:109], v[124:125], v[108:109]
	v_fma_f64 v[124:125], v[140:141], s[18:19], v[142:143]
	v_fma_f64 v[142:143], v[140:141], s[18:19], -v[142:143]
	v_add_f64 v[56:57], v[138:139], v[56:57]
	v_mul_f64 v[138:139], v[136:137], s[30:31]
	s_mov_b32 s43, 0x3fcea1e5
	s_mov_b32 s42, s28
	v_fma_f64 v[150:151], v[140:141], s[10:11], v[134:135]
	v_add_f64 v[112:113], v[144:145], v[112:113]
	v_add_f64 v[124:125], v[124:125], v[128:129]
	v_fma_f64 v[128:129], v[140:141], s[10:11], -v[134:135]
	v_mul_f64 v[134:135], v[136:137], s[42:43]
	v_add_f64 v[144:145], v[50:51], -v[74:75]
	s_mov_b32 s41, 0x3fea55e2
	s_mov_b32 s40, s22
	v_add_f64 v[120:121], v[142:143], v[120:121]
	v_fma_f64 v[142:143], v[140:141], s[6:7], v[138:139]
	v_fma_f64 v[138:139], v[140:141], s[6:7], -v[138:139]
	v_mul_f64 v[136:137], v[136:137], s[40:41]
	v_add_f64 v[126:127], v[146:147], v[126:127]
	v_add_f64 v[110:111], v[148:149], v[110:111]
	;; [unrolled: 1-line block ×3, first 2 shown]
	v_fma_f64 v[128:129], v[140:141], s[26:27], v[134:135]
	v_add_f64 v[146:147], v[72:73], v[48:49]
	v_mul_f64 v[148:149], v[144:145], s[20:21]
	v_add_f64 v[132:133], v[142:143], v[132:133]
	v_fma_f64 v[134:135], v[140:141], s[26:27], -v[134:135]
	v_add_f64 v[114:115], v[138:139], v[114:115]
	v_fma_f64 v[138:139], v[140:141], s[4:5], v[136:137]
	v_mul_f64 v[142:143], v[144:145], s[24:25]
	v_fma_f64 v[136:137], v[140:141], s[4:5], -v[136:137]
	v_add_f64 v[128:129], v[128:129], v[130:131]
	v_fma_f64 v[130:131], v[146:147], s[18:19], v[148:149]
	v_mul_f64 v[140:141], v[144:145], s[22:23]
	v_add_f64 v[108:109], v[134:135], v[108:109]
	v_fma_f64 v[134:135], v[146:147], s[18:19], -v[148:149]
	v_add_f64 v[126:127], v[138:139], v[126:127]
	v_fma_f64 v[138:139], v[146:147], s[6:7], v[142:143]
	v_add_f64 v[56:57], v[136:137], v[56:57]
	v_fma_f64 v[136:137], v[146:147], s[6:7], -v[142:143]
	v_add_f64 v[116:117], v[150:151], v[116:117]
	v_add_f64 v[110:111], v[130:131], v[110:111]
	v_fma_f64 v[130:131], v[146:147], s[4:5], v[140:141]
	v_mul_f64 v[142:143], v[144:145], s[42:43]
	v_add_f64 v[112:113], v[134:135], v[112:113]
	v_fma_f64 v[134:135], v[146:147], s[4:5], -v[140:141]
	v_add_f64 v[124:125], v[138:139], v[124:125]
	v_mul_f64 v[138:139], v[144:145], s[34:35]
	v_add_f64 v[120:121], v[136:137], v[120:121]
	v_add_f64 v[136:137], v[46:47], -v[42:43]
	v_add_f64 v[116:117], v[130:131], v[116:117]
	v_fma_f64 v[130:131], v[146:147], s[26:27], v[142:143]
	v_mul_f64 v[140:141], v[144:145], s[16:17]
	v_add_f64 v[122:123], v[134:135], v[122:123]
	v_fma_f64 v[134:135], v[146:147], s[26:27], -v[142:143]
	v_fma_f64 v[142:143], v[146:147], s[10:11], v[138:139]
	v_add_f64 v[144:145], v[40:41], v[44:45]
	v_mul_f64 v[148:149], v[136:137], s[28:29]
	v_fma_f64 v[138:139], v[146:147], s[10:11], -v[138:139]
	v_add_f64 v[130:131], v[130:131], v[132:133]
	v_fma_f64 v[132:133], v[146:147], s[14:15], v[140:141]
	v_fma_f64 v[140:141], v[146:147], s[14:15], -v[140:141]
	v_mul_f64 v[146:147], v[136:137], s[34:35]
	v_add_f64 v[114:115], v[134:135], v[114:115]
	v_add_f64 v[128:129], v[142:143], v[128:129]
	v_fma_f64 v[134:135], v[144:145], s[26:27], v[148:149]
	v_add_f64 v[108:109], v[138:139], v[108:109]
	v_fma_f64 v[138:139], v[144:145], s[26:27], -v[148:149]
	v_add_f64 v[126:127], v[132:133], v[126:127]
	v_mul_f64 v[142:143], v[136:137], s[20:21]
	v_fma_f64 v[132:133], v[144:145], s[10:11], v[146:147]
	v_add_f64 v[56:57], v[140:141], v[56:57]
	v_fma_f64 v[140:141], v[144:145], s[10:11], -v[146:147]
	v_add_f64 v[110:111], v[134:135], v[110:111]
	v_mul_f64 v[134:135], v[136:137], s[40:41]
	v_add_f64 v[112:113], v[138:139], v[112:113]
	v_mul_f64 v[138:139], v[136:137], s[16:17]
	v_mul_f64 v[136:137], v[136:137], s[24:25]
	v_add_f64 v[124:125], v[132:133], v[124:125]
	v_fma_f64 v[132:133], v[144:145], s[18:19], v[142:143]
	v_add_f64 v[120:121], v[140:141], v[120:121]
	v_fma_f64 v[140:141], v[144:145], s[18:19], -v[142:143]
	v_fma_f64 v[142:143], v[144:145], s[4:5], v[134:135]
	v_fma_f64 v[134:135], v[144:145], s[4:5], -v[134:135]
	v_fma_f64 v[146:147], v[144:145], s[14:15], v[138:139]
	v_fma_f64 v[148:149], v[144:145], s[6:7], v[136:137]
	v_fma_f64 v[136:137], v[144:145], s[6:7], -v[136:137]
	v_fma_f64 v[138:139], v[144:145], s[14:15], -v[138:139]
	v_add_f64 v[116:117], v[132:133], v[116:117]
	v_add_f64 v[122:123], v[140:141], v[122:123]
	;; [unrolled: 1-line block ×8, first 2 shown]
	s_movk_i32 s0, 0x68
	v_mad_u32_u24 v108, v106, s0, 0
	v_lshl_add_u32 v108, v107, 3, v108
	v_cmp_gt_u32_e64 s[0:1], 60, v106
	ds_write2_b64 v108, v[118:119], v[110:111] offset1:1
	ds_write2_b64 v108, v[124:125], v[116:117] offset0:2 offset1:3
	ds_write2_b64 v108, v[130:131], v[128:129] offset0:4 offset1:5
	;; [unrolled: 1-line block ×5, first 2 shown]
	ds_write_b64 v108, v[112:113] offset:96
	s_and_saveexec_b64 s[46:47], s[0:1]
	s_cbranch_execz .LBB0_15
; %bb.14:
	v_add_f64 v[56:57], v[64:65], v[36:37]
	v_add_f64 v[119:120], v[60:61], v[28:29]
	v_add_f64 v[121:122], v[38:39], -v[66:67]
	v_add_f64 v[127:128], v[52:53], v[20:21]
	v_add_f64 v[131:132], v[30:31], -v[62:63]
	;; [unrolled: 2-line block ×3, first 2 shown]
	v_add_f64 v[125:126], v[18:19], -v[34:35]
	v_mul_f64 v[123:124], v[56:57], s[26:27]
	v_mul_f64 v[137:138], v[119:120], s[10:11]
	;; [unrolled: 1-line block ×4, first 2 shown]
	v_add_f64 v[113:114], v[24:25], v[8:9]
	v_mul_f64 v[141:142], v[117:118], s[4:5]
	v_mul_f64 v[151:152], v[119:120], s[6:7]
	;; [unrolled: 1-line block ×3, first 2 shown]
	v_fma_f64 v[139:140], v[121:122], s[42:43], v[123:124]
	v_fma_f64 v[153:154], v[131:132], s[38:39], v[137:138]
	;; [unrolled: 1-line block ×6, first 2 shown]
	v_add_f64 v[109:110], v[4:5], v[0:1]
	v_add_f64 v[115:116], v[10:11], -v[26:27]
	v_add_f64 v[139:140], v[12:13], v[139:140]
	v_mul_f64 v[135:136], v[113:114], s[14:15]
	v_add_f64 v[123:124], v[12:13], v[123:124]
	v_mul_f64 v[149:150], v[127:128], s[4:5]
	v_mul_f64 v[161:162], v[119:120], s[18:19]
	v_fma_f64 v[143:144], v[129:130], s[20:21], v[143:144]
	v_fma_f64 v[171:172], v[131:132], s[30:31], v[151:152]
	;; [unrolled: 1-line block ×3, first 2 shown]
	v_add_f64 v[139:140], v[153:154], v[139:140]
	v_fma_f64 v[151:152], v[131:132], s[24:25], v[151:152]
	v_add_f64 v[123:124], v[137:138], v[123:124]
	v_add_f64 v[111:112], v[2:3], -v[6:7]
	v_mul_f64 v[133:134], v[109:110], s[6:7]
	v_mul_f64 v[147:148], v[117:118], s[26:27]
	;; [unrolled: 1-line block ×3, first 2 shown]
	v_fma_f64 v[167:168], v[115:116], s[44:45], v[135:136]
	v_add_f64 v[139:140], v[165:166], v[139:140]
	v_fma_f64 v[165:166], v[121:122], s[36:37], v[155:156]
	v_fma_f64 v[155:156], v[121:122], s[20:21], v[155:156]
	;; [unrolled: 1-line block ×3, first 2 shown]
	v_add_f64 v[173:174], v[12:13], v[173:174]
	v_add_f64 v[123:124], v[143:144], v[123:124]
	v_fma_f64 v[143:144], v[129:130], s[22:23], v[149:150]
	v_mul_f64 v[145:146], v[113:114], s[10:11]
	v_add_f64 v[137:138], v[169:170], v[139:140]
	v_add_f64 v[139:140], v[12:13], v[165:166]
	;; [unrolled: 1-line block ×3, first 2 shown]
	v_fma_f64 v[165:166], v[129:130], s[40:41], v[149:150]
	v_fma_f64 v[169:170], v[131:132], s[20:21], v[161:162]
	v_mul_f64 v[157:158], v[117:118], s[6:7]
	v_fma_f64 v[153:154], v[111:112], s[30:31], v[133:134]
	v_add_f64 v[123:124], v[141:142], v[123:124]
	v_add_f64 v[137:138], v[167:168], v[137:138]
	;; [unrolled: 1-line block ×4, first 2 shown]
	v_fma_f64 v[151:152], v[125:126], s[28:29], v[147:148]
	v_fma_f64 v[155:156], v[129:130], s[38:39], v[159:160]
	v_add_f64 v[167:168], v[169:170], v[173:174]
	v_fma_f64 v[141:142], v[125:126], s[42:43], v[147:148]
	v_fma_f64 v[135:136], v[115:116], s[16:17], v[135:136]
	v_add_f64 v[137:138], v[153:154], v[137:138]
	v_add_f64 v[139:140], v[165:166], v[139:140]
	v_add_f64 v[143:144], v[143:144], v[149:150]
	v_mul_f64 v[147:148], v[109:110], s[14:15]
	v_mul_f64 v[149:150], v[113:114], s[26:27]
	v_fma_f64 v[153:154], v[125:126], s[24:25], v[157:158]
	v_add_f64 v[155:156], v[155:156], v[167:168]
	v_fma_f64 v[165:166], v[115:116], s[38:39], v[145:146]
	v_fma_f64 v[145:146], v[115:116], s[34:35], v[145:146]
	v_add_f64 v[139:140], v[151:152], v[139:140]
	v_add_f64 v[141:142], v[141:142], v[143:144]
	v_fma_f64 v[133:134], v[111:112], s[24:25], v[133:134]
	v_add_f64 v[123:124], v[135:136], v[123:124]
	v_mul_f64 v[135:136], v[109:110], s[4:5]
	v_fma_f64 v[143:144], v[115:116], s[28:29], v[149:150]
	v_add_f64 v[151:152], v[153:154], v[155:156]
	v_fma_f64 v[153:154], v[111:112], s[44:45], v[147:148]
	v_add_f64 v[139:140], v[165:166], v[139:140]
	;; [unrolled: 2-line block ×3, first 2 shown]
	v_mul_f64 v[145:146], v[56:57], s[6:7]
	v_fma_f64 v[155:156], v[111:112], s[22:23], v[135:136]
	v_fma_f64 v[163:164], v[121:122], s[16:17], v[163:164]
	v_add_f64 v[143:144], v[143:144], v[151:152]
	v_add_f64 v[123:124], v[133:134], v[123:124]
	v_add_f64 v[133:134], v[153:154], v[139:140]
	v_mul_f64 v[139:140], v[119:120], s[26:27]
	v_add_f64 v[141:142], v[147:148], v[141:142]
	v_fma_f64 v[147:148], v[121:122], s[24:25], v[145:146]
	v_fma_f64 v[151:152], v[131:132], s[36:37], v[161:162]
	v_add_f64 v[153:154], v[12:13], v[163:164]
	v_add_f64 v[143:144], v[155:156], v[143:144]
	v_mul_f64 v[155:156], v[127:128], s[14:15]
	v_fma_f64 v[145:146], v[121:122], s[30:31], v[145:146]
	v_fma_f64 v[161:162], v[131:132], s[42:43], v[139:140]
	;; [unrolled: 1-line block ×3, first 2 shown]
	v_add_f64 v[147:148], v[12:13], v[147:148]
	v_fma_f64 v[139:140], v[131:132], s[28:29], v[139:140]
	v_add_f64 v[151:152], v[151:152], v[153:154]
	v_fma_f64 v[153:154], v[125:126], s[30:31], v[157:158]
	v_fma_f64 v[163:164], v[129:130], s[16:17], v[155:156]
	v_add_f64 v[145:146], v[12:13], v[145:146]
	v_mul_f64 v[157:158], v[117:118], s[10:11]
	v_fma_f64 v[149:150], v[115:116], s[42:43], v[149:150]
	v_add_f64 v[147:148], v[161:162], v[147:148]
	v_add_f64 v[161:162], v[36:37], v[12:13]
	;; [unrolled: 1-line block ×3, first 2 shown]
	v_mul_f64 v[159:160], v[113:114], s[4:5]
	v_fma_f64 v[155:156], v[129:130], s[44:45], v[155:156]
	v_add_f64 v[139:140], v[139:140], v[145:146]
	v_fma_f64 v[165:166], v[125:126], s[38:39], v[157:158]
	v_fma_f64 v[157:158], v[125:126], s[34:35], v[157:158]
	v_add_f64 v[145:146], v[163:164], v[147:148]
	v_add_f64 v[147:148], v[28:29], v[161:162]
	;; [unrolled: 1-line block ×3, first 2 shown]
	v_mul_f64 v[161:162], v[56:57], s[4:5]
	v_fma_f64 v[163:164], v[115:116], s[40:41], v[159:160]
	v_add_f64 v[139:140], v[155:156], v[139:140]
	v_mul_f64 v[56:57], v[56:57], s[10:11]
	v_fma_f64 v[159:160], v[115:116], s[22:23], v[159:160]
	v_add_f64 v[145:146], v[165:166], v[145:146]
	v_add_f64 v[147:148], v[20:21], v[147:148]
	;; [unrolled: 1-line block ×3, first 2 shown]
	v_mul_f64 v[151:152], v[119:120], s[14:15]
	v_fma_f64 v[155:156], v[121:122], s[40:41], v[161:162]
	v_add_f64 v[139:140], v[157:158], v[139:140]
	v_mul_f64 v[157:158], v[127:128], s[26:27]
	v_mul_f64 v[119:120], v[119:120], s[4:5]
	v_add_f64 v[145:146], v[163:164], v[145:146]
	v_add_f64 v[147:148], v[16:17], v[147:148]
	v_fma_f64 v[173:174], v[121:122], s[38:39], v[56:57]
	v_fma_f64 v[163:164], v[131:132], s[44:45], v[151:152]
	v_add_f64 v[155:156], v[12:13], v[155:156]
	v_fma_f64 v[161:162], v[121:122], s[22:23], v[161:162]
	v_fma_f64 v[169:170], v[129:130], s[42:43], v[157:158]
	v_fma_f64 v[56:57], v[121:122], s[34:35], v[56:57]
	v_mul_f64 v[127:128], v[127:128], s[6:7]
	v_add_f64 v[147:148], v[8:9], v[147:148]
	v_fma_f64 v[121:122], v[131:132], s[22:23], v[119:120]
	v_fma_f64 v[151:152], v[131:132], s[16:17], v[151:152]
	v_add_f64 v[155:156], v[163:164], v[155:156]
	v_add_f64 v[161:162], v[12:13], v[161:162]
	v_fma_f64 v[119:120], v[131:132], s[40:41], v[119:120]
	v_add_f64 v[139:140], v[159:160], v[139:140]
	v_mul_f64 v[159:160], v[117:118], s[18:19]
	v_add_f64 v[147:148], v[0:1], v[147:148]
	v_mul_f64 v[117:118], v[117:118], s[14:15]
	v_mul_f64 v[167:168], v[113:114], s[6:7]
	v_add_f64 v[155:156], v[169:170], v[155:156]
	v_add_f64 v[169:170], v[12:13], v[173:174]
	;; [unrolled: 1-line block ×3, first 2 shown]
	v_fma_f64 v[56:57], v[129:130], s[30:31], v[127:128]
	v_add_f64 v[151:152], v[151:152], v[161:162]
	v_add_f64 v[147:148], v[4:5], v[147:148]
	v_fma_f64 v[127:128], v[129:130], s[24:25], v[127:128]
	v_mul_f64 v[113:114], v[113:114], s[18:19]
	v_fma_f64 v[175:176], v[125:126], s[20:21], v[159:160]
	v_add_f64 v[121:122], v[121:122], v[169:170]
	v_add_f64 v[12:13], v[119:120], v[12:13]
	v_fma_f64 v[119:120], v[125:126], s[16:17], v[117:118]
	v_fma_f64 v[117:118], v[125:126], s[44:45], v[117:118]
	v_add_f64 v[131:132], v[24:25], v[147:148]
	v_fma_f64 v[147:148], v[129:130], s[28:29], v[157:158]
	v_fma_f64 v[129:130], v[125:126], s[36:37], v[159:160]
	v_mul_f64 v[153:154], v[109:110], s[18:19]
	v_add_f64 v[56:57], v[56:57], v[121:122]
	v_add_f64 v[12:13], v[127:128], v[12:13]
	v_mul_f64 v[163:164], v[109:110], s[10:11]
	v_mul_f64 v[109:110], v[109:110], s[26:27]
	v_add_f64 v[121:122], v[32:33], v[131:132]
	v_add_f64 v[131:132], v[147:148], v[151:152]
	v_fma_f64 v[125:126], v[115:116], s[20:21], v[113:114]
	v_fma_f64 v[171:172], v[115:116], s[30:31], v[167:168]
	v_add_f64 v[56:57], v[119:120], v[56:57]
	v_fma_f64 v[113:114], v[115:116], s[36:37], v[113:114]
	v_add_f64 v[12:13], v[117:118], v[12:13]
	;; [unrolled: 2-line block ×4, first 2 shown]
	v_add_f64 v[129:130], v[175:176], v[155:156]
	v_fma_f64 v[115:116], v[111:112], s[28:29], v[109:110]
	v_add_f64 v[56:57], v[125:126], v[56:57]
	v_fma_f64 v[153:154], v[111:112], s[20:21], v[153:154]
	v_fma_f64 v[135:136], v[111:112], s[40:41], v[135:136]
	v_add_f64 v[117:118], v[60:61], v[119:120]
	v_fma_f64 v[119:120], v[111:112], s[34:35], v[163:164]
	v_add_f64 v[121:122], v[121:122], v[127:128]
	;; [unrolled: 2-line block ×4, first 2 shown]
	v_add_f64 v[56:57], v[115:116], v[56:57]
	v_add_f64 v[111:112], v[64:65], v[117:118]
	;; [unrolled: 1-line block ×8, first 2 shown]
	v_add_u32_e32 v109, 0x1a68, v108
	ds_write2_b64 v109, v[111:112], v[56:57] offset1:1
	v_add_u32_e32 v56, 0x1a78, v108
	ds_write2_b64 v56, v[115:116], v[113:114] offset1:1
	;; [unrolled: 2-line block ×6, first 2 shown]
	ds_write_b64 v108, v[12:13] offset:6856
.LBB0_15:
	s_or_b64 exec, exec, s[46:47]
	v_add_f64 v[12:13], v[90:91], v[58:59]
	v_add_f64 v[56:57], v[88:89], -v[96:97]
	v_add_f64 v[88:89], v[98:99], v[90:91]
	v_add_f64 v[90:91], v[94:95], v[86:87]
	v_add_f64 v[84:85], v[84:85], -v[92:93]
	v_add_f64 v[76:77], v[76:77], -v[100:101]
	v_add_f64 v[92:93], v[102:103], v[78:79]
	v_add_f64 v[68:69], v[68:69], -v[80:81]
	v_add_f64 v[12:13], v[86:87], v[12:13]
	v_mul_f64 v[86:87], v[56:57], s[38:39]
	v_mul_f64 v[96:97], v[56:57], s[22:23]
	;; [unrolled: 1-line block ×7, first 2 shown]
	v_add_f64 v[12:13], v[78:79], v[12:13]
	v_mul_f64 v[115:116], v[84:85], s[16:17]
	v_fma_f64 v[129:130], v[88:89], s[10:11], -v[86:87]
	v_fma_f64 v[86:87], v[88:89], s[10:11], v[86:87]
	v_fma_f64 v[131:132], v[88:89], s[4:5], -v[96:97]
	v_mul_f64 v[78:79], v[84:85], s[28:29]
	v_mul_f64 v[117:118], v[84:85], s[36:37]
	;; [unrolled: 1-line block ×3, first 2 shown]
	v_add_f64 v[12:13], v[70:71], v[12:13]
	v_mul_f64 v[84:85], v[84:85], s[34:35]
	v_mul_f64 v[121:122], v[76:77], s[30:31]
	;; [unrolled: 1-line block ×3, first 2 shown]
	v_fma_f64 v[96:97], v[88:89], s[4:5], v[96:97]
	v_fma_f64 v[133:134], v[88:89], s[6:7], -v[100:101]
	v_fma_f64 v[100:101], v[88:89], s[6:7], v[100:101]
	v_fma_f64 v[135:136], v[88:89], s[14:15], -v[109:110]
	v_add_f64 v[12:13], v[50:51], v[12:13]
	v_fma_f64 v[109:110], v[88:89], s[14:15], v[109:110]
	v_fma_f64 v[137:138], v[88:89], s[18:19], -v[111:112]
	v_fma_f64 v[111:112], v[88:89], s[18:19], v[111:112]
	v_fma_f64 v[139:140], v[88:89], s[26:27], -v[56:57]
	v_fma_f64 v[56:57], v[88:89], s[26:27], v[56:57]
	v_fma_f64 v[88:89], v[90:91], s[4:5], -v[113:114]
	v_fma_f64 v[113:114], v[90:91], s[4:5], v[113:114]
	v_add_f64 v[12:13], v[46:47], v[12:13]
	v_fma_f64 v[141:142], v[90:91], s[14:15], -v[115:116]
	v_add_f64 v[129:130], v[58:59], v[129:130]
	v_add_f64 v[86:87], v[58:59], v[86:87]
	;; [unrolled: 1-line block ×3, first 2 shown]
	v_mul_f64 v[125:126], v[76:77], s[44:45]
	v_mul_f64 v[127:128], v[76:77], s[34:35]
	v_fma_f64 v[115:116], v[90:91], s[14:15], v[115:116]
	v_add_f64 v[12:13], v[42:43], v[12:13]
	v_fma_f64 v[143:144], v[90:91], s[26:27], -v[78:79]
	v_fma_f64 v[78:79], v[90:91], s[26:27], v[78:79]
	v_fma_f64 v[145:146], v[90:91], s[18:19], -v[117:118]
	v_fma_f64 v[117:118], v[90:91], s[18:19], v[117:118]
	;; [unrolled: 2-line block ×3, first 2 shown]
	v_fma_f64 v[149:150], v[90:91], s[10:11], -v[84:85]
	v_add_f64 v[12:13], v[74:75], v[12:13]
	v_fma_f64 v[84:85], v[90:91], s[10:11], v[84:85]
	v_fma_f64 v[90:91], v[92:93], s[6:7], -v[121:122]
	v_fma_f64 v[121:122], v[92:93], s[6:7], v[121:122]
	v_fma_f64 v[151:152], v[92:93], s[26:27], -v[123:124]
	v_add_f64 v[96:97], v[58:59], v[96:97]
	v_add_f64 v[133:134], v[58:59], v[133:134]
	;; [unrolled: 1-line block ×14, first 2 shown]
	v_fma_f64 v[123:124], v[92:93], s[26:27], v[123:124]
	v_add_f64 v[96:97], v[115:116], v[96:97]
	v_add_f64 v[78:79], v[78:79], v[100:101]
	;; [unrolled: 1-line block ×3, first 2 shown]
	v_fma_f64 v[153:154], v[92:93], s[14:15], -v[125:126]
	v_add_f64 v[12:13], v[94:95], v[12:13]
	v_add_f64 v[94:95], v[117:118], v[109:110]
	;; [unrolled: 1-line block ×4, first 2 shown]
	v_mul_f64 v[88:89], v[76:77], s[22:23]
	v_add_f64 v[102:103], v[143:144], v[133:134]
	v_add_f64 v[100:101], v[145:146], v[135:136]
	;; [unrolled: 1-line block ×4, first 2 shown]
	v_fma_f64 v[12:13], v[92:93], s[14:15], v[125:126]
	v_fma_f64 v[98:99], v[92:93], s[10:11], v[127:128]
	v_add_f64 v[58:59], v[90:91], v[58:59]
	v_add_f64 v[90:91], v[123:124], v[96:97]
	v_fma_f64 v[96:97], v[92:93], s[10:11], -v[127:128]
	v_mul_f64 v[76:77], v[76:77], s[20:21]
	v_add_f64 v[70:71], v[82:83], v[70:71]
	v_mul_f64 v[82:83], v[68:69], s[16:17]
	v_add_f64 v[12:13], v[12:13], v[78:79]
	v_fma_f64 v[78:79], v[92:93], s[4:5], -v[88:89]
	v_add_f64 v[94:95], v[98:99], v[94:95]
	v_mul_f64 v[98:99], v[68:69], s[36:37]
	v_add_f64 v[80:81], v[153:154], v[102:103]
	v_fma_f64 v[88:89], v[92:93], s[4:5], v[88:89]
	v_add_f64 v[96:97], v[96:97], v[100:101]
	v_fma_f64 v[100:101], v[92:93], s[18:19], -v[76:77]
	v_fma_f64 v[76:77], v[92:93], s[18:19], v[76:77]
	v_add_f64 v[78:79], v[78:79], v[109:110]
	v_fma_f64 v[92:93], v[70:71], s[14:15], -v[82:83]
	v_mul_f64 v[102:103], v[68:69], s[34:35]
	v_fma_f64 v[82:83], v[70:71], s[14:15], v[82:83]
	v_fma_f64 v[109:110], v[70:71], s[18:19], -v[98:99]
	v_add_f64 v[48:49], v[48:49], -v[72:73]
	v_add_f64 v[111:112], v[119:120], v[111:112]
	v_add_f64 v[56:57], v[76:77], v[56:57]
	v_fma_f64 v[76:77], v[70:71], s[18:19], v[98:99]
	v_add_f64 v[58:59], v[92:93], v[58:59]
	v_mul_f64 v[92:93], v[68:69], s[30:31]
	v_fma_f64 v[98:99], v[70:71], s[10:11], -v[102:103]
	v_add_f64 v[82:83], v[82:83], v[84:85]
	v_add_f64 v[84:85], v[109:110], v[86:87]
	v_fma_f64 v[86:87], v[70:71], s[10:11], v[102:103]
	v_mul_f64 v[102:103], v[68:69], s[42:43]
	v_add_f64 v[113:114], v[149:150], v[139:140]
	v_add_f64 v[76:77], v[76:77], v[90:91]
	v_fma_f64 v[72:73], v[70:71], s[6:7], -v[92:93]
	v_fma_f64 v[90:91], v[70:71], s[6:7], v[92:93]
	v_mul_f64 v[68:69], v[68:69], s[40:41]
	v_add_f64 v[50:51], v[74:75], v[50:51]
	v_add_f64 v[12:13], v[86:87], v[12:13]
	v_fma_f64 v[86:87], v[70:71], s[26:27], -v[102:103]
	v_mul_f64 v[74:75], v[48:49], s[20:21]
	v_add_f64 v[88:89], v[88:89], v[111:112]
	v_add_f64 v[100:101], v[100:101], v[113:114]
	;; [unrolled: 1-line block ×3, first 2 shown]
	v_fma_f64 v[92:93], v[70:71], s[26:27], v[102:103]
	v_add_f64 v[90:91], v[90:91], v[94:95]
	v_fma_f64 v[94:95], v[70:71], s[4:5], -v[68:69]
	v_mul_f64 v[96:97], v[48:49], s[24:25]
	v_fma_f64 v[68:69], v[70:71], s[4:5], v[68:69]
	v_add_f64 v[70:71], v[86:87], v[78:79]
	v_fma_f64 v[78:79], v[50:51], s[18:19], -v[74:75]
	v_mul_f64 v[86:87], v[48:49], s[22:23]
	v_add_f64 v[80:81], v[98:99], v[80:81]
	v_add_f64 v[88:89], v[92:93], v[88:89]
	v_fma_f64 v[74:75], v[50:51], s[18:19], v[74:75]
	v_add_f64 v[92:93], v[94:95], v[100:101]
	v_fma_f64 v[94:95], v[50:51], s[6:7], -v[96:97]
	v_add_f64 v[56:57], v[68:69], v[56:57]
	v_fma_f64 v[68:69], v[50:51], s[6:7], v[96:97]
	v_add_f64 v[58:59], v[78:79], v[58:59]
	v_fma_f64 v[78:79], v[50:51], s[4:5], -v[86:87]
	v_mul_f64 v[96:97], v[48:49], s[42:43]
	v_add_f64 v[40:41], v[44:45], -v[40:41]
	v_add_f64 v[74:75], v[74:75], v[82:83]
	v_fma_f64 v[82:83], v[50:51], s[4:5], v[86:87]
	v_mul_f64 v[86:87], v[48:49], s[34:35]
	v_add_f64 v[68:69], v[68:69], v[76:77]
	v_mul_f64 v[48:49], v[48:49], s[16:17]
	v_add_f64 v[44:45], v[78:79], v[80:81]
	v_fma_f64 v[76:77], v[50:51], s[26:27], -v[96:97]
	v_fma_f64 v[78:79], v[50:51], s[26:27], v[96:97]
	v_add_f64 v[42:43], v[42:43], v[46:47]
	v_mul_f64 v[46:47], v[40:41], s[28:29]
	v_add_f64 v[12:13], v[82:83], v[12:13]
	v_fma_f64 v[80:81], v[50:51], s[10:11], -v[86:87]
	v_fma_f64 v[82:83], v[50:51], s[10:11], v[86:87]
	v_mul_f64 v[86:87], v[40:41], s[34:35]
	v_add_f64 v[72:73], v[76:77], v[72:73]
	v_fma_f64 v[76:77], v[50:51], s[14:15], -v[48:49]
	v_fma_f64 v[48:49], v[50:51], s[14:15], v[48:49]
	v_add_f64 v[50:51], v[78:79], v[90:91]
	v_fma_f64 v[78:79], v[42:43], s[26:27], -v[46:47]
	v_fma_f64 v[46:47], v[42:43], s[26:27], v[46:47]
	v_add_f64 v[84:85], v[94:95], v[84:85]
	v_add_f64 v[70:71], v[80:81], v[70:71]
	;; [unrolled: 1-line block ×3, first 2 shown]
	v_fma_f64 v[82:83], v[42:43], s[10:11], -v[86:87]
	v_add_f64 v[48:49], v[48:49], v[56:57]
	v_fma_f64 v[56:57], v[42:43], s[10:11], v[86:87]
	v_mul_f64 v[86:87], v[40:41], s[20:21]
	v_add_f64 v[123:124], v[78:79], v[58:59]
	v_mul_f64 v[58:59], v[40:41], s[40:41]
	v_add_f64 v[125:126], v[46:47], v[74:75]
	v_mul_f64 v[46:47], v[40:41], s[16:17]
	v_mul_f64 v[40:41], v[40:41], s[24:25]
	v_add_f64 v[127:128], v[82:83], v[84:85]
	v_add_f64 v[129:130], v[56:57], v[68:69]
	v_fma_f64 v[56:57], v[42:43], s[18:19], -v[86:87]
	v_add_f64 v[76:77], v[76:77], v[92:93]
	v_fma_f64 v[74:75], v[42:43], s[4:5], -v[58:59]
	v_fma_f64 v[68:69], v[42:43], s[18:19], v[86:87]
	v_fma_f64 v[78:79], v[42:43], s[14:15], -v[46:47]
	v_fma_f64 v[82:83], v[42:43], s[6:7], -v[40:41]
	v_fma_f64 v[40:41], v[42:43], s[6:7], v[40:41]
	v_fma_f64 v[58:59], v[42:43], s[4:5], v[58:59]
	;; [unrolled: 1-line block ×3, first 2 shown]
	v_lshlrev_b32_e32 v113, 3, v107
	v_add_f64 v[131:132], v[56:57], v[44:45]
	v_add_f64 v[135:136], v[74:75], v[72:73]
	;; [unrolled: 1-line block ×5, first 2 shown]
	v_lshlrev_b32_e32 v40, 3, v106
	v_add3_u32 v102, 0, v40, v113
	v_add3_u32 v101, 0, v113, v40
	v_add_u32_e32 v109, 0x800, v102
	v_add_u32_e32 v110, 0x1000, v102
	;; [unrolled: 1-line block ×11, first 2 shown]
	v_add_f64 v[137:138], v[58:59], v[50:51]
	v_add_f64 v[141:142], v[46:47], v[80:81]
	;; [unrolled: 1-line block ×3, first 2 shown]
	s_waitcnt lgkmcnt(0)
	s_barrier
	ds_read_b64 v[12:13], v101
	ds_read2_b64 v[92:95], v109 offset0:69 offset1:134
	ds_read2_b64 v[68:71], v110 offset0:73 offset1:138
	;; [unrolled: 1-line block ×12, first 2 shown]
	v_add_u32_e32 v100, 0x41, v106
	s_waitcnt lgkmcnt(0)
	s_barrier
	ds_write2_b64 v108, v[121:122], v[123:124] offset1:1
	ds_write2_b64 v108, v[127:128], v[131:132] offset0:2 offset1:3
	ds_write2_b64 v108, v[135:136], v[139:140] offset0:4 offset1:5
	;; [unrolled: 1-line block ×5, first 2 shown]
	ds_write_b64 v108, v[125:126] offset:96
	s_and_saveexec_b64 s[4:5], s[0:1]
	s_cbranch_execz .LBB0_17
; %bb.16:
	v_add_f64 v[107:108], v[38:39], v[14:15]
	v_add_f64 v[36:37], v[36:37], -v[64:65]
	v_add_f64 v[28:29], v[28:29], -v[60:61]
	s_mov_b32 s24, 0x42a4c3d2
	s_mov_b32 s25, 0xbfea55e2
	v_add_f64 v[38:39], v[66:67], v[38:39]
	s_mov_b32 s0, 0x1ea71119
	s_mov_b32 s34, 0x66966769
	v_add_f64 v[64:65], v[30:31], v[107:108]
	v_mul_f64 v[107:108], v[36:37], s[24:25]
	s_mov_b32 s20, 0x2ef20147
	s_mov_b32 s22, 0x24c2f84
	;; [unrolled: 1-line block ×6, first 2 shown]
	v_add_f64 v[64:65], v[22:23], v[64:65]
	s_mov_b32 s21, 0xbfedeba7
	s_mov_b32 s23, 0xbfe5384d
	v_add_f64 v[30:31], v[62:63], v[30:31]
	v_mul_f64 v[121:122], v[36:37], s[34:35]
	v_mul_f64 v[123:124], v[36:37], s[20:21]
	;; [unrolled: 1-line block ×4, first 2 shown]
	v_add_f64 v[64:65], v[18:19], v[64:65]
	v_fma_f64 v[139:140], v[38:39], s[0:1], -v[107:108]
	v_fma_f64 v[107:108], v[38:39], s[0:1], v[107:108]
	s_mov_b32 s30, 0x4bc48dbf
	s_mov_b32 s31, 0xbfcea1e5
	;; [unrolled: 1-line block ×5, first 2 shown]
	v_add_f64 v[60:61], v[10:11], v[64:65]
	v_mul_f64 v[64:65], v[36:37], s[16:17]
	v_mul_f64 v[36:37], v[36:37], s[30:31]
	;; [unrolled: 1-line block ×6, first 2 shown]
	v_fma_f64 v[141:142], v[38:39], s[6:7], -v[121:122]
	v_add_f64 v[60:61], v[2:3], v[60:61]
	v_fma_f64 v[137:138], v[38:39], s[10:11], -v[64:65]
	v_fma_f64 v[64:65], v[38:39], s[10:11], v[64:65]
	v_fma_f64 v[121:122], v[38:39], s[6:7], v[121:122]
	v_fma_f64 v[143:144], v[38:39], s[14:15], -v[123:124]
	v_fma_f64 v[123:124], v[38:39], s[14:15], v[123:124]
	v_fma_f64 v[145:146], v[38:39], s[18:19], -v[125:126]
	v_fma_f64 v[149:150], v[30:31], s[14:15], -v[129:130]
	v_add_f64 v[60:61], v[6:7], v[60:61]
	v_fma_f64 v[129:130], v[30:31], s[14:15], v[129:130]
	v_add_f64 v[107:108], v[14:15], v[107:108]
	v_add_f64 v[20:21], v[20:21], -v[52:53]
	s_mov_b32 s28, 0x93053d00
	s_mov_b32 s29, 0xbfef11f4
	v_fma_f64 v[125:126], v[38:39], s[18:19], v[125:126]
	v_fma_f64 v[147:148], v[38:39], s[28:29], -v[36:37]
	v_add_f64 v[60:61], v[26:27], v[60:61]
	v_fma_f64 v[36:37], v[38:39], s[28:29], v[36:37]
	v_fma_f64 v[38:39], v[30:31], s[0:1], -v[127:128]
	v_fma_f64 v[127:128], v[30:31], s[0:1], v[127:128]
	v_fma_f64 v[151:152], v[30:31], s[28:29], -v[131:132]
	v_add_f64 v[137:138], v[14:15], v[137:138]
	v_add_f64 v[64:65], v[14:15], v[64:65]
	;; [unrolled: 1-line block ×7, first 2 shown]
	v_fma_f64 v[129:130], v[30:31], s[18:19], -v[133:134]
	v_add_f64 v[22:23], v[54:55], v[22:23]
	s_mov_b32 s17, 0x3fddbe06
	s_mov_b32 s39, 0x3fedeba7
	v_add_f64 v[60:61], v[54:55], v[60:61]
	v_mul_f64 v[54:55], v[20:21], s[34:35]
	s_mov_b32 s38, s20
	v_add_f64 v[139:140], v[14:15], v[139:140]
	v_add_f64 v[141:142], v[14:15], v[141:142]
	;; [unrolled: 1-line block ×4, first 2 shown]
	v_mul_f64 v[28:29], v[28:29], s[16:17]
	v_add_f64 v[60:61], v[62:63], v[60:61]
	v_add_f64 v[62:63], v[14:15], v[147:148]
	;; [unrolled: 1-line block ×5, first 2 shown]
	v_add_f64 v[16:17], v[16:17], -v[32:33]
	v_add_f64 v[64:65], v[149:150], v[139:140]
	v_add_f64 v[127:128], v[151:152], v[141:142]
	;; [unrolled: 1-line block ×3, first 2 shown]
	v_fma_f64 v[66:67], v[30:31], s[28:29], v[131:132]
	v_fma_f64 v[131:132], v[30:31], s[18:19], v[133:134]
	v_fma_f64 v[133:134], v[30:31], s[6:7], -v[135:136]
	v_fma_f64 v[135:136], v[30:31], s[6:7], v[135:136]
	v_add_f64 v[18:19], v[34:35], v[18:19]
	v_mul_f64 v[34:35], v[16:17], s[20:21]
	v_add_f64 v[8:9], v[8:9], -v[24:25]
	v_add_f64 v[10:11], v[26:27], v[10:11]
	v_add_f64 v[52:53], v[66:67], v[121:122]
	;; [unrolled: 1-line block ×4, first 2 shown]
	v_mul_f64 v[131:132], v[20:21], s[38:39]
	v_fma_f64 v[133:134], v[22:23], s[6:7], -v[54:55]
	v_fma_f64 v[54:55], v[22:23], s[6:7], v[54:55]
	v_add_f64 v[66:67], v[129:130], v[143:144]
	v_add_f64 v[125:126], v[135:136], v[125:126]
	v_fma_f64 v[129:130], v[30:31], s[10:11], -v[28:29]
	v_fma_f64 v[28:29], v[30:31], s[10:11], v[28:29]
	v_mul_f64 v[30:31], v[20:21], s[30:31]
	v_fma_f64 v[135:136], v[22:23], s[14:15], -v[131:132]
	v_add_f64 v[36:37], v[133:134], v[36:37]
	v_add_f64 v[38:39], v[54:55], v[38:39]
	v_fma_f64 v[54:55], v[22:23], s[14:15], v[131:132]
	v_mul_f64 v[131:132], v[20:21], s[24:25]
	v_add_f64 v[62:63], v[129:130], v[62:63]
	v_add_f64 v[14:15], v[28:29], v[14:15]
	v_mul_f64 v[28:29], v[20:21], s[16:17]
	v_fma_f64 v[129:130], v[22:23], s[28:29], -v[30:31]
	v_fma_f64 v[30:31], v[22:23], s[28:29], v[30:31]
	v_mul_f64 v[20:21], v[20:21], s[22:23]
	v_add_f64 v[32:33], v[54:55], v[52:53]
	v_fma_f64 v[52:53], v[22:23], s[0:1], -v[131:132]
	v_mul_f64 v[26:27], v[8:9], s[22:23]
	v_add_f64 v[0:1], v[0:1], -v[4:5]
	v_fma_f64 v[133:134], v[22:23], s[10:11], -v[28:29]
	v_fma_f64 v[28:29], v[22:23], s[10:11], v[28:29]
	v_add_f64 v[64:65], v[129:130], v[64:65]
	v_add_f64 v[30:31], v[30:31], v[107:108]
	;; [unrolled: 1-line block ×4, first 2 shown]
	v_mul_f64 v[123:124], v[16:17], s[16:17]
	v_fma_f64 v[127:128], v[22:23], s[18:19], -v[20:21]
	v_add_f64 v[54:55], v[133:134], v[66:67]
	v_fma_f64 v[66:67], v[22:23], s[0:1], v[131:132]
	v_add_f64 v[28:29], v[28:29], v[121:122]
	v_mul_f64 v[121:122], v[16:17], s[36:37]
	v_fma_f64 v[20:21], v[22:23], s[18:19], v[20:21]
	v_fma_f64 v[22:23], v[18:19], s[14:15], -v[34:35]
	v_fma_f64 v[34:35], v[18:19], s[14:15], v[34:35]
	v_fma_f64 v[129:130], v[18:19], s[10:11], -v[123:124]
	s_mov_b32 s37, 0x3fcea1e5
	s_mov_b32 s36, s30
	v_add_f64 v[66:67], v[66:67], v[125:126]
	v_fma_f64 v[125:126], v[18:19], s[18:19], -v[121:122]
	v_add_f64 v[62:63], v[127:128], v[62:63]
	v_mul_f64 v[127:128], v[16:17], s[34:35]
	v_add_f64 v[14:15], v[20:21], v[14:15]
	v_add_f64 v[20:21], v[22:23], v[36:37]
	;; [unrolled: 1-line block ×4, first 2 shown]
	v_fma_f64 v[38:39], v[18:19], s[10:11], v[123:124]
	v_mul_f64 v[107:108], v[16:17], s[36:37]
	s_mov_b32 s35, 0x3fea55e2
	s_mov_b32 s34, s24
	v_fma_f64 v[121:122], v[18:19], s[18:19], v[121:122]
	v_add_f64 v[34:35], v[125:126], v[64:65]
	v_fma_f64 v[64:65], v[18:19], s[6:7], -v[127:128]
	v_mul_f64 v[16:17], v[16:17], s[34:35]
	v_add_f64 v[24:25], v[38:39], v[32:33]
	v_fma_f64 v[38:39], v[18:19], s[28:29], -v[107:108]
	v_mul_f64 v[4:5], v[8:9], s[20:21]
	v_add_f64 v[2:3], v[6:7], v[2:3]
	v_add_f64 v[30:31], v[121:122], v[30:31]
	v_fma_f64 v[121:122], v[18:19], s[6:7], v[127:128]
	v_add_f64 v[32:33], v[64:65], v[54:55]
	v_fma_f64 v[54:55], v[18:19], s[28:29], v[107:108]
	v_fma_f64 v[64:65], v[18:19], s[0:1], -v[16:17]
	v_fma_f64 v[16:17], v[18:19], s[0:1], v[16:17]
	v_add_f64 v[18:19], v[38:39], v[52:53]
	v_mul_f64 v[38:39], v[8:9], s[24:25]
	v_fma_f64 v[52:53], v[10:11], s[18:19], -v[26:27]
	v_fma_f64 v[26:27], v[10:11], s[18:19], v[26:27]
	v_mul_f64 v[107:108], v[8:9], s[26:27]
	v_add_f64 v[54:55], v[54:55], v[66:67]
	v_mul_f64 v[6:7], v[0:1], s[30:31]
	v_add_f64 v[14:15], v[16:17], v[14:15]
	v_add_f64 v[28:29], v[121:122], v[28:29]
	v_fma_f64 v[66:67], v[10:11], s[0:1], -v[38:39]
	v_add_f64 v[20:21], v[52:53], v[20:21]
	v_add_f64 v[22:23], v[26:27], v[22:23]
	v_fma_f64 v[26:27], v[10:11], s[0:1], v[38:39]
	v_mul_f64 v[38:39], v[8:9], s[36:37]
	v_mul_f64 v[52:53], v[8:9], s[16:17]
	v_fma_f64 v[16:17], v[10:11], s[6:7], v[107:108]
	v_add_f64 v[62:63], v[64:65], v[62:63]
	v_fma_f64 v[64:65], v[10:11], s[6:7], -v[107:108]
	v_add_f64 v[8:9], v[26:27], v[24:25]
	v_fma_f64 v[24:25], v[10:11], s[28:29], -v[38:39]
	v_fma_f64 v[26:27], v[10:11], s[28:29], v[38:39]
	v_fma_f64 v[38:39], v[10:11], s[10:11], v[52:53]
	v_add_f64 v[16:17], v[16:17], v[30:31]
	v_add_f64 v[30:31], v[66:67], v[36:37]
	v_fma_f64 v[36:37], v[10:11], s[10:11], -v[52:53]
	v_fma_f64 v[52:53], v[10:11], s[14:15], -v[4:5]
	v_fma_f64 v[4:5], v[10:11], s[14:15], v[4:5]
	v_add_f64 v[10:11], v[24:25], v[32:33]
	v_mul_f64 v[24:25], v[0:1], s[16:17]
	v_fma_f64 v[32:33], v[2:3], s[28:29], -v[6:7]
	v_add_f64 v[26:27], v[26:27], v[28:29]
	v_add_f64 v[28:29], v[38:39], v[54:55]
	v_fma_f64 v[6:7], v[2:3], s[28:29], v[6:7]
	v_mul_f64 v[38:39], v[0:1], s[22:23]
	v_add_f64 v[34:35], v[64:65], v[34:35]
	v_add_f64 v[18:19], v[36:37], v[18:19]
	;; [unrolled: 1-line block ×4, first 2 shown]
	v_fma_f64 v[14:15], v[2:3], s[10:11], -v[24:25]
	v_fma_f64 v[24:25], v[2:3], s[10:11], v[24:25]
	v_mul_f64 v[52:53], v[0:1], s[34:35]
	v_add_f64 v[20:21], v[32:33], v[20:21]
	v_mul_f64 v[32:33], v[0:1], s[20:21]
	v_mul_f64 v[0:1], v[0:1], s[26:27]
	v_add_f64 v[6:7], v[6:7], v[22:23]
	v_fma_f64 v[22:23], v[2:3], s[18:19], -v[38:39]
	v_add_f64 v[14:15], v[14:15], v[34:35]
	v_add_f64 v[16:17], v[24:25], v[16:17]
	v_fma_f64 v[24:25], v[2:3], s[0:1], -v[52:53]
	v_fma_f64 v[34:35], v[2:3], s[0:1], v[52:53]
	v_fma_f64 v[52:53], v[2:3], s[14:15], -v[32:33]
	v_fma_f64 v[54:55], v[2:3], s[6:7], -v[0:1]
	v_fma_f64 v[0:1], v[2:3], s[6:7], v[0:1]
	v_fma_f64 v[32:33], v[2:3], s[14:15], v[32:33]
	;; [unrolled: 1-line block ×3, first 2 shown]
	v_add_f64 v[22:23], v[22:23], v[30:31]
	v_add_f64 v[10:11], v[24:25], v[10:11]
	;; [unrolled: 1-line block ×8, first 2 shown]
	v_mul_u32_u24_e32 v8, 0x68, v100
	v_add3_u32 v8, 0, v8, v113
	ds_write2_b64 v8, v[60:61], v[20:21] offset1:1
	ds_write2_b64 v8, v[14:15], v[22:23] offset0:2 offset1:3
	ds_write2_b64 v8, v[10:11], v[18:19] offset0:4 offset1:5
	;; [unrolled: 1-line block ×5, first 2 shown]
	ds_write_b64 v8, v[6:7] offset:96
.LBB0_17:
	s_or_b64 exec, exec, s[4:5]
	s_movk_i32 s0, 0x4f
	v_mul_lo_u16_sdwa v0, v106, s0 dst_sel:DWORD dst_unused:UNUSED_PAD src0_sel:BYTE_0 src1_sel:DWORD
	v_lshrrev_b16_e32 v4, 10, v0
	v_mul_lo_u16_e32 v0, 13, v4
	v_sub_u16_e32 v5, v106, v0
	v_mov_b32_e32 v8, 6
	v_lshlrev_b32_sdwa v0, v8, v5 dst_sel:DWORD dst_unused:UNUSED_PAD src0_sel:DWORD src1_sel:BYTE_0
	s_waitcnt lgkmcnt(0)
	s_barrier
	global_load_dwordx4 v[17:20], v0, s[8:9] offset:16
	global_load_dwordx4 v[21:24], v0, s[8:9]
	global_load_dwordx4 v[25:28], v0, s[8:9] offset:48
	global_load_dwordx4 v[29:32], v0, s[8:9] offset:32
	v_mul_lo_u16_sdwa v0, v100, s0 dst_sel:DWORD dst_unused:UNUSED_PAD src0_sel:BYTE_0 src1_sel:DWORD
	v_lshrrev_b16_e32 v6, 10, v0
	v_mul_lo_u16_e32 v0, 13, v6
	v_sub_u16_e32 v7, v100, v0
	v_lshlrev_b32_sdwa v0, v8, v7 dst_sel:DWORD dst_unused:UNUSED_PAD src0_sel:DWORD src1_sel:BYTE_0
	v_add_u32_e32 v108, 0x82, v106
	global_load_dwordx4 v[33:36], v0, s[8:9]
	global_load_dwordx4 v[52:55], v0, s[8:9] offset:16
	global_load_dwordx4 v[60:63], v0, s[8:9] offset:32
	;; [unrolled: 1-line block ×3, first 2 shown]
	v_mul_lo_u16_sdwa v0, v108, s0 dst_sel:DWORD dst_unused:UNUSED_PAD src0_sel:BYTE_0 src1_sel:DWORD
	v_lshrrev_b16_e32 v9, 10, v0
	v_mul_lo_u16_e32 v0, 13, v9
	v_sub_u16_e32 v10, v108, v0
	v_lshlrev_b32_sdwa v0, v8, v10 dst_sel:DWORD dst_unused:UNUSED_PAD src0_sel:DWORD src1_sel:BYTE_0
	global_load_dwordx4 v[121:124], v0, s[8:9]
	global_load_dwordx4 v[125:128], v0, s[8:9] offset:16
	global_load_dwordx4 v[129:132], v0, s[8:9] offset:32
	;; [unrolled: 1-line block ×3, first 2 shown]
	v_add_u32_e32 v107, 0xc3, v106
	s_movk_i32 s0, 0x4ec5
	v_mul_u32_u24_sdwa v0, v107, s0 dst_sel:DWORD dst_unused:UNUSED_PAD src0_sel:WORD_0 src1_sel:DWORD
	v_lshrrev_b32_e32 v11, 18, v0
	v_mul_lo_u16_e32 v0, 13, v11
	v_sub_u16_e32 v14, v107, v0
	v_lshlrev_b32_e32 v0, 6, v14
	global_load_dwordx4 v[137:140], v0, s[8:9]
	global_load_dwordx4 v[141:144], v0, s[8:9] offset:16
	global_load_dwordx4 v[145:148], v0, s[8:9] offset:32
	;; [unrolled: 1-line block ×3, first 2 shown]
	v_add_u32_e32 v103, 0x104, v106
	v_mul_u32_u24_sdwa v0, v103, s0 dst_sel:DWORD dst_unused:UNUSED_PAD src0_sel:WORD_0 src1_sel:DWORD
	v_lshrrev_b32_e32 v15, 18, v0
	v_mul_lo_u16_e32 v0, 13, v15
	v_sub_u16_e32 v16, v103, v0
	v_lshlrev_b32_e32 v0, 6, v16
	global_load_dwordx4 v[153:156], v0, s[8:9]
	global_load_dwordx4 v[157:160], v0, s[8:9] offset:16
	ds_read_b64 v[37:38], v101
	ds_read2_b64 v[161:164], v109 offset0:69 offset1:134
	ds_read2_b64 v[165:168], v110 offset0:73 offset1:138
	;; [unrolled: 1-line block ×4, first 2 shown]
	global_load_dwordx4 v[177:180], v0, s[8:9] offset:48
	global_load_dwordx4 v[181:184], v0, s[8:9] offset:32
	ds_read2_b64 v[185:188], v102 offset0:65 offset1:130
	ds_read2_b64 v[189:192], v114 offset0:75 offset1:140
	;; [unrolled: 1-line block ×8, first 2 shown]
	s_mov_b32 s4, 0x134454ff
	s_mov_b32 s5, 0xbfee6f0e
	;; [unrolled: 1-line block ×10, first 2 shown]
	s_movk_i32 s0, 0x208
	s_waitcnt vmcnt(0) lgkmcnt(0)
	s_barrier
	v_mul_f64 v[215:216], v[167:168], v[19:20]
	v_mul_f64 v[213:214], v[161:162], v[23:24]
	;; [unrolled: 1-line block ×16, first 2 shown]
	v_fma_f64 v[92:93], v[92:93], v[21:22], v[213:214]
	v_fma_f64 v[21:22], v[161:162], v[21:22], -v[23:24]
	v_fma_f64 v[23:24], v[70:71], v[17:18], v[215:216]
	v_mul_f64 v[70:71], v[191:192], v[127:128]
	v_fma_f64 v[17:18], v[167:168], v[17:18], -v[19:20]
	v_fma_f64 v[19:20], v[96:97], v[29:30], v[217:218]
	v_fma_f64 v[29:30], v[169:170], v[29:30], -v[31:32]
	v_fma_f64 v[31:32], v[58:59], v[25:26], v[219:220]
	;; [unrolled: 2-line block ×5, first 2 shown]
	v_fma_f64 v[58:59], v[171:172], v[60:61], -v[62:63]
	v_mul_f64 v[60:61], v[197:198], v[123:124]
	v_fma_f64 v[62:63], v[84:85], v[64:65], v[227:228]
	v_fma_f64 v[64:65], v[193:194], v[64:65], -v[66:67]
	v_mul_f64 v[66:67], v[80:81], v[123:124]
	v_mul_f64 v[84:85], v[90:91], v[127:128]
	;; [unrolled: 1-line block ×4, first 2 shown]
	v_fma_f64 v[70:71], v[90:91], v[125:126], v[70:71]
	v_mul_f64 v[90:91], v[199:200], v[139:140]
	v_fma_f64 v[60:61], v[80:81], v[121:122], v[60:61]
	v_mul_f64 v[80:81], v[195:196], v[135:136]
	v_mul_f64 v[96:97], v[86:87], v[135:136]
	v_fma_f64 v[66:67], v[197:198], v[121:122], -v[66:67]
	v_fma_f64 v[84:85], v[191:192], v[125:126], -v[84:85]
	v_fma_f64 v[76:77], v[76:77], v[129:130], v[88:89]
	v_fma_f64 v[88:89], v[201:202], v[129:130], -v[94:95]
	v_mul_f64 v[94:95], v[82:83], v[139:140]
	v_mul_f64 v[121:122], v[203:204], v[147:148]
	v_fma_f64 v[82:83], v[82:83], v[137:138], v[90:91]
	v_mul_f64 v[90:91], v[209:210], v[151:152]
	v_mul_f64 v[125:126], v[48:49], v[151:152]
	v_fma_f64 v[80:81], v[86:87], v[133:134], v[80:81]
	v_fma_f64 v[86:87], v[195:196], v[133:134], -v[96:97]
	v_mul_f64 v[96:97], v[205:206], v[143:144]
	v_mul_f64 v[98:99], v[72:73], v[143:144]
	v_mul_f64 v[123:124], v[78:79], v[147:148]
	v_fma_f64 v[78:79], v[78:79], v[145:146], v[121:122]
	v_mul_f64 v[121:122], v[165:166], v[155:156]
	v_fma_f64 v[48:49], v[48:49], v[149:150], v[90:91]
	v_fma_f64 v[90:91], v[209:210], v[149:150], -v[125:126]
	v_mul_f64 v[125:126], v[207:208], v[159:160]
	v_add_f64 v[127:128], v[12:13], v[92:93]
	v_mul_f64 v[129:130], v[74:75], v[159:160]
	v_add_f64 v[131:132], v[23:24], v[19:20]
	v_fma_f64 v[72:73], v[72:73], v[141:142], v[96:97]
	v_fma_f64 v[96:97], v[205:206], v[141:142], -v[98:99]
	v_fma_f64 v[98:99], v[203:204], v[145:146], -v[123:124]
	v_mul_f64 v[123:124], v[68:69], v[155:156]
	v_fma_f64 v[68:69], v[68:69], v[153:154], v[121:122]
	v_mul_f64 v[121:122], v[173:174], v[183:184]
	v_mul_f64 v[133:134], v[56:57], v[183:184]
	v_fma_f64 v[74:75], v[74:75], v[157:158], v[125:126]
	v_add_f64 v[125:126], v[127:128], v[23:24]
	v_fma_f64 v[127:128], v[207:208], v[157:158], -v[129:130]
	v_fma_f64 v[129:130], v[131:132], -0.5, v[12:13]
	v_add_f64 v[131:132], v[21:22], -v[25:26]
	v_add_f64 v[141:142], v[92:93], v[31:32]
	v_fma_f64 v[94:95], v[199:200], v[137:138], -v[94:95]
	v_fma_f64 v[56:57], v[56:57], v[181:182], v[121:122]
	v_fma_f64 v[121:122], v[173:174], v[181:182], -v[133:134]
	v_mul_f64 v[133:134], v[211:212], v[179:180]
	v_mul_f64 v[135:136], v[50:51], v[179:180]
	v_add_f64 v[139:140], v[17:18], -v[29:30]
	v_fma_f64 v[137:138], v[131:132], s[4:5], v[129:130]
	v_add_f64 v[143:144], v[92:93], -v[23:24]
	v_add_f64 v[145:146], v[31:32], -v[19:20]
	v_fma_f64 v[12:13], v[141:142], -0.5, v[12:13]
	v_add_f64 v[125:126], v[125:126], v[19:20]
	v_fma_f64 v[50:51], v[50:51], v[177:178], v[133:134]
	v_fma_f64 v[133:134], v[211:212], v[177:178], -v[135:136]
	v_fma_f64 v[129:130], v[131:132], s[10:11], v[129:130]
	v_fma_f64 v[135:136], v[139:140], s[6:7], v[137:138]
	v_add_f64 v[141:142], v[17:18], v[29:30]
	v_add_f64 v[137:138], v[143:144], v[145:146]
	v_fma_f64 v[143:144], v[139:140], s[10:11], v[12:13]
	v_add_f64 v[125:126], v[125:126], v[31:32]
	v_add_f64 v[145:146], v[23:24], -v[92:93]
	v_add_f64 v[147:148], v[19:20], -v[31:32]
	v_fma_f64 v[12:13], v[139:140], s[4:5], v[12:13]
	v_add_f64 v[149:150], v[37:38], v[21:22]
	v_add_f64 v[31:32], v[92:93], -v[31:32]
	v_fma_f64 v[92:93], v[139:140], s[14:15], v[129:130]
	v_fma_f64 v[129:130], v[131:132], s[6:7], v[143:144]
	v_add_f64 v[143:144], v[21:22], v[25:26]
	v_fma_f64 v[141:142], v[141:142], -0.5, v[37:38]
	v_add_f64 v[139:140], v[145:146], v[147:148]
	v_fma_f64 v[12:13], v[131:132], s[14:15], v[12:13]
	v_add_f64 v[131:132], v[149:150], v[17:18]
	v_add_f64 v[19:20], v[23:24], -v[19:20]
	v_fma_f64 v[23:24], v[137:138], s[16:17], v[135:136]
	v_fma_f64 v[92:93], v[137:138], s[16:17], v[92:93]
	v_fma_f64 v[37:38], v[143:144], -0.5, v[37:38]
	v_fma_f64 v[145:146], v[31:32], s[10:11], v[141:142]
	v_fma_f64 v[129:130], v[139:140], s[16:17], v[129:130]
	;; [unrolled: 1-line block ×3, first 2 shown]
	v_add_f64 v[12:13], v[131:132], v[29:30]
	v_add_f64 v[137:138], v[21:22], -v[17:18]
	v_add_f64 v[139:140], v[35:36], v[54:55]
	v_add_f64 v[143:144], v[25:26], -v[29:30]
	v_add_f64 v[17:18], v[17:18], -v[21:22]
	;; [unrolled: 1-line block ×3, first 2 shown]
	v_fma_f64 v[29:30], v[19:20], s[10:11], v[37:38]
	v_fma_f64 v[131:132], v[19:20], s[14:15], v[145:146]
	;; [unrolled: 1-line block ×4, first 2 shown]
	v_add_f64 v[37:38], v[44:45], v[27:28]
	v_fma_f64 v[139:140], v[139:140], -0.5, v[44:45]
	v_add_f64 v[147:148], v[33:34], -v[64:65]
	v_add_f64 v[17:18], v[17:18], v[21:22]
	v_fma_f64 v[21:22], v[31:32], s[6:7], v[29:30]
	v_add_f64 v[29:30], v[27:28], v[62:63]
	v_add_f64 v[137:138], v[137:138], v[143:144]
	v_fma_f64 v[19:20], v[19:20], s[6:7], v[141:142]
	v_fma_f64 v[141:142], v[31:32], s[14:15], v[145:146]
	v_add_f64 v[31:32], v[37:38], v[35:36]
	v_fma_f64 v[37:38], v[147:148], s[4:5], v[139:140]
	v_add_f64 v[143:144], v[52:53], -v[58:59]
	v_add_f64 v[145:146], v[12:13], v[25:26]
	v_fma_f64 v[12:13], v[29:30], -0.5, v[44:45]
	v_fma_f64 v[131:132], v[137:138], s[16:17], v[131:132]
	v_fma_f64 v[137:138], v[137:138], s[16:17], v[19:20]
	;; [unrolled: 1-line block ×4, first 2 shown]
	v_add_f64 v[17:18], v[31:32], v[54:55]
	v_fma_f64 v[19:20], v[143:144], s[6:7], v[37:38]
	v_add_f64 v[21:22], v[27:28], -v[35:36]
	v_add_f64 v[25:26], v[52:53], v[58:59]
	v_add_f64 v[29:30], v[62:63], -v[54:55]
	v_fma_f64 v[31:32], v[147:148], s[10:11], v[139:140]
	v_fma_f64 v[37:38], v[143:144], s[10:11], v[12:13]
	v_add_f64 v[44:45], v[35:36], -v[27:28]
	v_add_f64 v[139:140], v[54:55], -v[62:63]
	;; [unrolled: 1-line block ×3, first 2 shown]
	v_fma_f64 v[12:13], v[143:144], s[4:5], v[12:13]
	v_fma_f64 v[25:26], v[25:26], -0.5, v[185:186]
	v_add_f64 v[21:22], v[21:22], v[29:30]
	v_fma_f64 v[29:30], v[143:144], s[14:15], v[31:32]
	v_fma_f64 v[31:32], v[147:148], s[6:7], v[37:38]
	v_add_f64 v[151:152], v[185:186], v[33:34]
	v_add_f64 v[37:38], v[44:45], v[139:140]
	;; [unrolled: 1-line block ×3, first 2 shown]
	v_add_f64 v[35:36], v[35:36], -v[54:55]
	v_fma_f64 v[143:144], v[27:28], s[10:11], v[25:26]
	v_fma_f64 v[19:20], v[21:22], s[16:17], v[19:20]
	;; [unrolled: 1-line block ×4, first 2 shown]
	v_add_f64 v[139:140], v[151:152], v[52:53]
	v_fma_f64 v[29:30], v[37:38], s[16:17], v[31:32]
	v_fma_f64 v[31:32], v[44:45], -0.5, v[185:186]
	v_add_f64 v[17:18], v[17:18], v[62:63]
	v_fma_f64 v[44:45], v[35:36], s[14:15], v[143:144]
	v_add_f64 v[54:55], v[33:34], -v[52:53]
	v_add_f64 v[62:63], v[70:71], v[76:77]
	v_fma_f64 v[25:26], v[27:28], s[4:5], v[25:26]
	v_add_f64 v[33:34], v[52:53], -v[33:34]
	v_add_f64 v[52:53], v[58:59], -v[64:65]
	v_fma_f64 v[143:144], v[35:36], s[4:5], v[31:32]
	v_fma_f64 v[31:32], v[35:36], s[10:11], v[31:32]
	;; [unrolled: 1-line block ×3, first 2 shown]
	v_add_f64 v[12:13], v[139:140], v[58:59]
	v_add_f64 v[139:140], v[64:65], -v[58:59]
	v_add_f64 v[58:59], v[46:47], v[60:61]
	v_fma_f64 v[62:63], v[62:63], -0.5, v[46:47]
	v_add_f64 v[147:148], v[66:67], -v[86:87]
	v_fma_f64 v[25:26], v[35:36], s[6:7], v[25:26]
	v_fma_f64 v[35:36], v[27:28], s[14:15], v[143:144]
	v_add_f64 v[33:34], v[33:34], v[52:53]
	v_fma_f64 v[27:28], v[27:28], s[6:7], v[31:32]
	v_add_f64 v[52:53], v[60:61], v[80:81]
	v_fma_f64 v[123:124], v[165:166], v[153:154], -v[123:124]
	v_add_f64 v[54:55], v[54:55], v[139:140]
	v_add_f64 v[31:32], v[58:59], v[70:71]
	v_fma_f64 v[58:59], v[147:148], s[4:5], v[62:63]
	v_add_f64 v[139:140], v[84:85], -v[88:89]
	v_add_f64 v[64:65], v[12:13], v[64:65]
	v_fma_f64 v[153:154], v[33:34], s[16:17], v[35:36]
	v_fma_f64 v[155:156], v[33:34], s[16:17], v[27:28]
	v_fma_f64 v[12:13], v[52:53], -0.5, v[46:47]
	v_add_f64 v[33:34], v[187:188], v[66:67]
	v_add_f64 v[35:36], v[84:85], v[88:89]
	v_fma_f64 v[143:144], v[54:55], s[16:17], v[44:45]
	v_fma_f64 v[151:152], v[54:55], s[16:17], v[25:26]
	v_add_f64 v[25:26], v[31:32], v[76:77]
	v_fma_f64 v[27:28], v[139:140], s[6:7], v[58:59]
	v_add_f64 v[31:32], v[60:61], -v[70:71]
	v_add_f64 v[44:45], v[80:81], -v[76:77]
	v_fma_f64 v[46:47], v[147:148], s[10:11], v[62:63]
	v_fma_f64 v[52:53], v[139:140], s[10:11], v[12:13]
	v_add_f64 v[54:55], v[70:71], -v[60:61]
	v_add_f64 v[58:59], v[76:77], -v[80:81]
	v_fma_f64 v[12:13], v[139:140], s[4:5], v[12:13]
	v_add_f64 v[33:34], v[33:34], v[84:85]
	v_fma_f64 v[35:36], v[35:36], -0.5, v[187:188]
	v_add_f64 v[60:61], v[60:61], -v[80:81]
	v_add_f64 v[31:32], v[31:32], v[44:45]
	v_fma_f64 v[44:45], v[139:140], s[14:15], v[46:47]
	v_fma_f64 v[46:47], v[147:148], s[6:7], v[52:53]
	v_add_f64 v[52:53], v[54:55], v[58:59]
	v_fma_f64 v[12:13], v[147:148], s[14:15], v[12:13]
	v_add_f64 v[33:34], v[33:34], v[88:89]
	v_add_f64 v[54:55], v[66:67], v[86:87]
	v_fma_f64 v[58:59], v[60:61], s[10:11], v[35:36]
	v_add_f64 v[62:63], v[70:71], -v[76:77]
	v_fma_f64 v[27:28], v[31:32], s[16:17], v[27:28]
	v_fma_f64 v[31:32], v[31:32], s[16:17], v[44:45]
	;; [unrolled: 1-line block ×4, first 2 shown]
	v_add_f64 v[70:71], v[33:34], v[86:87]
	v_fma_f64 v[12:13], v[54:55], -0.5, v[187:188]
	v_add_f64 v[52:53], v[66:67], -v[84:85]
	v_fma_f64 v[33:34], v[62:63], s[14:15], v[58:59]
	v_add_f64 v[54:55], v[86:87], -v[88:89]
	v_add_f64 v[58:59], v[40:41], v[82:83]
	v_add_f64 v[25:26], v[25:26], v[80:81]
	v_fma_f64 v[35:36], v[60:61], s[4:5], v[35:36]
	v_add_f64 v[76:77], v[72:73], v[78:79]
	v_fma_f64 v[80:81], v[62:63], s[4:5], v[12:13]
	v_add_f64 v[66:67], v[84:85], -v[66:67]
	v_add_f64 v[84:85], v[88:89], -v[86:87]
	v_fma_f64 v[12:13], v[62:63], s[10:11], v[12:13]
	v_add_f64 v[52:53], v[52:53], v[54:55]
	v_add_f64 v[54:55], v[58:59], v[72:73]
	v_fma_f64 v[35:36], v[62:63], s[6:7], v[35:36]
	v_fma_f64 v[58:59], v[76:77], -0.5, v[40:41]
	v_add_f64 v[62:63], v[94:95], -v[90:91]
	v_fma_f64 v[76:77], v[60:61], s[14:15], v[80:81]
	v_add_f64 v[66:67], v[66:67], v[84:85]
	v_fma_f64 v[12:13], v[60:61], s[6:7], v[12:13]
	v_add_f64 v[60:61], v[82:83], v[48:49]
	v_add_f64 v[54:55], v[54:55], v[78:79]
	v_fma_f64 v[80:81], v[52:53], s[16:17], v[33:34]
	v_fma_f64 v[84:85], v[52:53], s[16:17], v[35:36]
	;; [unrolled: 1-line block ×3, first 2 shown]
	v_add_f64 v[35:36], v[96:97], -v[98:99]
	v_fma_f64 v[76:77], v[66:67], s[16:17], v[76:77]
	v_fma_f64 v[66:67], v[66:67], s[16:17], v[12:13]
	v_fma_f64 v[12:13], v[60:61], -0.5, v[40:41]
	v_add_f64 v[39:40], v[54:55], v[48:49]
	v_add_f64 v[52:53], v[82:83], -v[72:73]
	v_add_f64 v[54:55], v[48:49], -v[78:79]
	v_fma_f64 v[58:59], v[62:63], s[10:11], v[58:59]
	v_add_f64 v[60:61], v[0:1], v[94:95]
	v_fma_f64 v[33:34], v[35:36], s[6:7], v[33:34]
	v_add_f64 v[86:87], v[96:97], v[98:99]
	v_fma_f64 v[88:89], v[35:36], s[10:11], v[12:13]
	v_fma_f64 v[12:13], v[35:36], s[4:5], v[12:13]
	v_add_f64 v[139:140], v[72:73], -v[82:83]
	v_add_f64 v[52:53], v[52:53], v[54:55]
	v_fma_f64 v[54:55], v[35:36], s[14:15], v[58:59]
	v_add_f64 v[35:36], v[60:61], v[96:97]
	v_add_f64 v[147:148], v[78:79], -v[48:49]
	v_fma_f64 v[58:59], v[86:87], -0.5, v[0:1]
	v_add_f64 v[48:49], v[82:83], -v[48:49]
	v_fma_f64 v[60:61], v[62:63], s[6:7], v[88:89]
	v_fma_f64 v[12:13], v[62:63], s[14:15], v[12:13]
	;; [unrolled: 1-line block ×4, first 2 shown]
	v_add_f64 v[35:36], v[35:36], v[98:99]
	v_add_f64 v[54:55], v[94:95], v[90:91]
	;; [unrolled: 1-line block ×3, first 2 shown]
	v_fma_f64 v[62:63], v[48:49], s[10:11], v[58:59]
	v_add_f64 v[72:73], v[72:73], -v[78:79]
	v_add_f64 v[78:79], v[74:75], v[56:57]
	v_add_f64 v[86:87], v[94:95], -v[96:97]
	v_add_f64 v[88:89], v[90:91], -v[98:99]
	v_add_f64 v[139:140], v[35:36], v[90:91]
	v_fma_f64 v[0:1], v[54:55], -0.5, v[0:1]
	v_add_f64 v[35:36], v[42:43], v[68:69]
	v_fma_f64 v[60:61], v[82:83], s[16:17], v[60:61]
	v_fma_f64 v[82:83], v[82:83], s[16:17], v[12:13]
	;; [unrolled: 1-line block ×3, first 2 shown]
	v_fma_f64 v[54:55], v[78:79], -0.5, v[42:43]
	v_add_f64 v[62:63], v[123:124], -v[133:134]
	v_add_f64 v[78:79], v[86:87], v[88:89]
	v_fma_f64 v[58:59], v[48:49], s[4:5], v[58:59]
	v_fma_f64 v[86:87], v[72:73], s[4:5], v[0:1]
	v_add_f64 v[88:89], v[96:97], -v[94:95]
	v_add_f64 v[90:91], v[98:99], -v[90:91]
	v_fma_f64 v[0:1], v[72:73], s[10:11], v[0:1]
	v_add_f64 v[35:36], v[35:36], v[74:75]
	v_fma_f64 v[94:95], v[62:63], s[4:5], v[54:55]
	v_add_f64 v[96:97], v[127:128], -v[121:122]
	v_add_f64 v[98:99], v[68:69], -v[74:75]
	v_add_f64 v[147:148], v[50:51], -v[56:57]
	v_fma_f64 v[58:59], v[72:73], s[6:7], v[58:59]
	v_add_f64 v[72:73], v[68:69], v[50:51]
	v_fma_f64 v[86:87], v[48:49], s[14:15], v[86:87]
	v_add_f64 v[88:89], v[88:89], v[90:91]
	;; [unrolled: 2-line block ×4, first 2 shown]
	v_fma_f64 v[94:95], v[78:79], s[16:17], v[12:13]
	v_fma_f64 v[12:13], v[72:73], -0.5, v[42:43]
	v_fma_f64 v[58:59], v[78:79], s[16:17], v[58:59]
	v_fma_f64 v[72:73], v[88:89], s[16:17], v[86:87]
	;; [unrolled: 1-line block ×3, first 2 shown]
	v_add_f64 v[0:1], v[35:36], v[50:51]
	v_add_f64 v[35:36], v[127:128], v[121:122]
	;; [unrolled: 1-line block ×3, first 2 shown]
	v_fma_f64 v[41:42], v[90:91], s[16:17], v[48:49]
	v_fma_f64 v[48:49], v[62:63], s[10:11], v[54:55]
	v_add_f64 v[86:87], v[74:75], -v[68:69]
	v_add_f64 v[98:99], v[56:57], -v[50:51]
	v_add_f64 v[147:148], v[2:3], v[123:124]
	v_add_f64 v[50:51], v[68:69], -v[50:51]
	v_fma_f64 v[35:36], v[35:36], -0.5, v[2:3]
	v_add_f64 v[56:57], v[74:75], -v[56:57]
	v_fma_f64 v[2:3], v[88:89], -0.5, v[2:3]
	v_fma_f64 v[54:55], v[96:97], s[10:11], v[12:13]
	v_fma_f64 v[12:13], v[96:97], s[4:5], v[12:13]
	;; [unrolled: 1-line block ×3, first 2 shown]
	v_add_f64 v[68:69], v[86:87], v[98:99]
	v_add_f64 v[74:75], v[147:148], v[127:128]
	v_fma_f64 v[86:87], v[50:51], s[10:11], v[35:36]
	v_add_f64 v[88:89], v[123:124], -v[127:128]
	v_add_f64 v[96:97], v[133:134], -v[121:122]
	v_fma_f64 v[35:36], v[50:51], s[4:5], v[35:36]
	v_fma_f64 v[98:99], v[56:57], s[4:5], v[2:3]
	v_add_f64 v[123:124], v[127:128], -v[123:124]
	v_add_f64 v[127:128], v[121:122], -v[133:134]
	v_fma_f64 v[2:3], v[56:57], s[10:11], v[2:3]
	v_fma_f64 v[54:55], v[62:63], s[6:7], v[54:55]
	;; [unrolled: 1-line block ×3, first 2 shown]
	v_add_f64 v[62:63], v[74:75], v[121:122]
	v_fma_f64 v[74:75], v[56:57], s[14:15], v[86:87]
	v_add_f64 v[86:87], v[88:89], v[96:97]
	v_fma_f64 v[35:36], v[56:57], s[6:7], v[35:36]
	;; [unrolled: 2-line block ×3, first 2 shown]
	v_fma_f64 v[56:57], v[50:51], s[14:15], v[98:99]
	v_fma_f64 v[50:51], v[68:69], s[16:17], v[54:55]
	;; [unrolled: 1-line block ×3, first 2 shown]
	v_mov_b32_e32 v12, 3
	v_fma_f64 v[48:49], v[90:91], s[16:17], v[48:49]
	v_fma_f64 v[68:69], v[86:87], s[16:17], v[74:75]
	;; [unrolled: 1-line block ×4, first 2 shown]
	v_mad_u32_u24 v2, v4, s0, 0
	v_lshlrev_b32_sdwa v3, v12, v5 dst_sel:DWORD dst_unused:UNUSED_PAD src0_sel:DWORD src1_sel:BYTE_0
	v_add3_u32 v13, v2, v3, v113
	v_mad_u32_u24 v2, v6, s0, 0
	v_lshlrev_b32_sdwa v3, v12, v7 dst_sel:DWORD dst_unused:UNUSED_PAD src0_sel:DWORD src1_sel:BYTE_0
	v_fma_f64 v[56:57], v[88:89], s[16:17], v[56:57]
	v_add3_u32 v88, v2, v3, v113
	v_mad_u32_u24 v2, v9, s0, 0
	v_lshlrev_b32_sdwa v3, v12, v10 dst_sel:DWORD dst_unused:UNUSED_PAD src0_sel:DWORD src1_sel:BYTE_0
	v_add3_u32 v9, v2, v3, v113
	v_mad_u32_u24 v2, v11, s0, 0
	v_lshlrev_b32_e32 v3, 3, v14
	v_add3_u32 v10, v2, v3, v113
	v_mad_u32_u24 v2, v15, s0, 0
	v_lshlrev_b32_e32 v3, 3, v16
	v_add3_u32 v11, v2, v3, v113
	v_add_f64 v[62:63], v[62:63], v[133:134]
	ds_write2_b64 v13, v[125:126], v[23:24] offset1:13
	ds_write2_b64 v13, v[129:130], v[135:136] offset0:26 offset1:39
	ds_write_b64 v13, v[92:93] offset:416
	ds_write2_b64 v88, v[17:18], v[19:20] offset1:13
	ds_write2_b64 v88, v[29:30], v[37:38] offset0:26 offset1:39
	ds_write_b64 v88, v[21:22] offset:416
	ds_write2_b64 v9, v[25:26], v[27:28] offset1:13
	ds_write2_b64 v9, v[44:45], v[46:47] offset0:26 offset1:39
	ds_write_b64 v9, v[31:32] offset:416
	ds_write2_b64 v10, v[39:40], v[33:34] offset1:13
	ds_write2_b64 v10, v[60:61], v[82:83] offset0:26 offset1:39
	ds_write_b64 v10, v[52:53] offset:416
	ds_write2_b64 v11, v[0:1], v[41:42] offset1:13
	ds_write2_b64 v11, v[50:51], v[54:55] offset0:26 offset1:39
	ds_write_b64 v11, v[48:49] offset:416
	s_waitcnt lgkmcnt(0)
	s_barrier
	ds_read_b64 v[98:99], v101
	ds_read2_b64 v[16:19], v109 offset0:69 offset1:134
	ds_read2_b64 v[20:23], v110 offset0:73 offset1:138
	;; [unrolled: 1-line block ×12, first 2 shown]
	s_waitcnt lgkmcnt(0)
	s_barrier
	ds_write2_b64 v13, v[145:146], v[131:132] offset1:13
	ds_write2_b64 v13, v[141:142], v[149:150] offset0:26 offset1:39
	ds_write_b64 v13, v[137:138] offset:416
	ds_write2_b64 v88, v[64:65], v[143:144] offset1:13
	ds_write2_b64 v88, v[153:154], v[155:156] offset0:26 offset1:39
	ds_write_b64 v88, v[151:152] offset:416
	;; [unrolled: 3-line block ×5, first 2 shown]
	v_lshlrev_b32_e32 v56, 2, v106
	v_mov_b32_e32 v57, 0
	v_lshlrev_b64 v[9:10], 4, v[56:57]
	v_mov_b32_e32 v11, s9
	v_add_co_u32_e64 v80, s[0:1], s8, v9
	v_addc_co_u32_e64 v81, s[0:1], v11, v10, s[0:1]
	s_waitcnt lgkmcnt(0)
	s_barrier
	global_load_dwordx4 v[58:61], v[80:81], off offset:832
	global_load_dwordx4 v[62:65], v[80:81], off offset:848
	;; [unrolled: 1-line block ×4, first 2 shown]
	s_movk_i32 s0, 0xfd
	v_mul_lo_u16_sdwa v9, v108, s0 dst_sel:DWORD dst_unused:UNUSED_PAD src0_sel:BYTE_0 src1_sel:DWORD
	v_lshrrev_b16_e32 v9, 14, v9
	v_mul_lo_u16_e32 v9, 0x41, v9
	v_sub_u16_e32 v13, v108, v9
	v_lshlrev_b32_sdwa v8, v8, v13 dst_sel:DWORD dst_unused:UNUSED_PAD src0_sel:DWORD src1_sel:BYTE_0
	global_load_dwordx4 v[74:77], v8, s[8:9] offset:832
	global_load_dwordx4 v[82:85], v8, s[8:9] offset:848
	;; [unrolled: 1-line block ×4, first 2 shown]
	s_movk_i32 s0, 0xfc1
	v_mul_u32_u24_sdwa v8, v107, s0 dst_sel:DWORD dst_unused:UNUSED_PAD src0_sel:WORD_0 src1_sel:DWORD
	v_lshrrev_b32_e32 v8, 18, v8
	v_mul_lo_u16_e32 v8, 0x41, v8
	v_sub_u16_e32 v14, v107, v8
	v_lshlrev_b32_e32 v8, 6, v14
	global_load_dwordx4 v[94:97], v8, s[8:9] offset:832
	global_load_dwordx4 v[121:124], v8, s[8:9] offset:848
	;; [unrolled: 1-line block ×4, first 2 shown]
	v_mul_u32_u24_sdwa v8, v103, s0 dst_sel:DWORD dst_unused:UNUSED_PAD src0_sel:WORD_0 src1_sel:DWORD
	v_lshrrev_b32_e32 v8, 18, v8
	v_mul_lo_u16_e32 v8, 0x41, v8
	v_sub_u16_e32 v15, v103, v8
	v_lshlrev_b32_e32 v8, 6, v15
	global_load_dwordx4 v[133:136], v8, s[8:9] offset:832
	global_load_dwordx4 v[137:140], v8, s[8:9] offset:848
	ds_read_b64 v[78:79], v101
	ds_read2_b64 v[141:144], v109 offset0:69 offset1:134
	ds_read2_b64 v[145:148], v110 offset0:73 offset1:138
	;; [unrolled: 1-line block ×8, first 2 shown]
	global_load_dwordx4 v[173:176], v8, s[8:9] offset:880
	global_load_dwordx4 v[177:180], v8, s[8:9] offset:864
	ds_read2_b64 v[181:184], v117 offset0:81 offset1:146
	ds_read2_b64 v[8:11], v118 offset0:67 offset1:132
	;; [unrolled: 1-line block ×4, first 2 shown]
	s_waitcnt vmcnt(0) lgkmcnt(0)
	s_barrier
	v_mul_f64 v[193:194], v[141:142], v[60:61]
	v_mul_f64 v[195:196], v[16:17], v[60:61]
	v_mul_f64 v[201:202], v[143:144], v[60:61]
	v_mul_f64 v[60:61], v[18:19], v[60:61]
	v_mul_f64 v[197:198], v[147:148], v[64:65]
	v_mul_f64 v[199:200], v[22:23], v[64:65]
	v_mul_f64 v[203:204], v[161:162], v[64:65]
	v_mul_f64 v[64:65], v[32:33], v[64:65]
	v_fma_f64 v[16:17], v[16:17], v[58:59], v[193:194]
	v_fma_f64 v[141:142], v[141:142], v[58:59], -v[195:196]
	v_fma_f64 v[18:19], v[18:19], v[58:59], v[201:202]
	v_fma_f64 v[58:59], v[143:144], v[58:59], -v[60:61]
	v_mul_f64 v[60:61], v[151:152], v[68:69]
	v_fma_f64 v[22:23], v[22:23], v[62:63], v[197:198]
	v_fma_f64 v[147:148], v[147:148], v[62:63], -v[199:200]
	v_fma_f64 v[32:33], v[32:33], v[62:63], v[203:204]
	v_fma_f64 v[62:63], v[161:162], v[62:63], -v[64:65]
	v_mul_f64 v[64:65], v[26:27], v[68:69]
	v_mul_f64 v[161:162], v[163:164], v[84:85]
	;; [unrolled: 1-line block ×3, first 2 shown]
	v_fma_f64 v[26:27], v[26:27], v[66:67], v[60:61]
	v_mul_f64 v[60:61], v[34:35], v[84:85]
	v_mul_f64 v[195:196], v[24:25], v[68:69]
	;; [unrolled: 1-line block ×8, first 2 shown]
	v_fma_f64 v[34:35], v[34:35], v[82:83], v[161:162]
	v_fma_f64 v[60:61], v[163:164], v[82:83], -v[60:61]
	v_mul_f64 v[82:83], v[171:172], v[96:97]
	v_fma_f64 v[24:25], v[24:25], v[66:67], v[193:194]
	v_fma_f64 v[149:150], v[149:150], v[66:67], -v[195:196]
	v_fma_f64 v[30:31], v[30:31], v[70:71], v[197:198]
	v_fma_f64 v[155:156], v[155:156], v[70:71], -v[199:200]
	v_fma_f64 v[64:65], v[151:152], v[66:67], -v[64:65]
	v_fma_f64 v[36:37], v[36:37], v[70:71], v[68:69]
	v_fma_f64 v[66:67], v[165:166], v[70:71], -v[72:73]
	v_fma_f64 v[40:41], v[40:41], v[74:75], v[143:144]
	v_fma_f64 v[68:69], v[169:170], v[74:75], -v[76:77]
	v_mul_f64 v[70:71], v[181:182], v[92:93]
	v_mul_f64 v[72:73], v[44:45], v[92:93]
	;; [unrolled: 1-line block ×5, first 2 shown]
	v_fma_f64 v[42:43], v[42:43], v[94:95], v[82:83]
	v_mul_f64 v[82:83], v[183:184], v[131:132]
	v_mul_f64 v[88:89], v[185:186], v[123:124]
	v_fma_f64 v[44:45], v[44:45], v[90:91], v[70:71]
	v_fma_f64 v[72:73], v[181:182], v[90:91], -v[72:73]
	v_fma_f64 v[38:39], v[38:39], v[86:87], v[74:75]
	v_fma_f64 v[74:75], v[167:168], v[86:87], -v[76:77]
	v_fma_f64 v[76:77], v[171:172], v[94:95], -v[84:85]
	v_mul_f64 v[84:85], v[46:47], v[131:132]
	v_mul_f64 v[90:91], v[145:146], v[135:136]
	;; [unrolled: 1-line block ×3, first 2 shown]
	v_fma_f64 v[46:47], v[46:47], v[129:130], v[82:83]
	v_add_f64 v[82:83], v[22:23], v[24:25]
	v_mul_f64 v[70:71], v[48:49], v[123:124]
	v_fma_f64 v[48:49], v[48:49], v[121:122], v[88:89]
	v_mul_f64 v[86:87], v[189:190], v[127:128]
	v_mul_f64 v[88:89], v[52:53], v[127:128]
	;; [unrolled: 1-line block ×3, first 2 shown]
	v_fma_f64 v[20:21], v[20:21], v[133:134], v[90:91]
	v_fma_f64 v[90:91], v[50:51], v[137:138], v[94:95]
	v_fma_f64 v[82:83], v[82:83], -0.5, v[98:99]
	v_add_f64 v[94:95], v[141:142], -v[155:156]
	v_add_f64 v[127:128], v[16:17], v[30:31]
	v_fma_f64 v[70:71], v[185:186], v[121:122], -v[70:71]
	v_fma_f64 v[84:85], v[183:184], v[129:130], -v[84:85]
	v_fma_f64 v[52:53], v[52:53], v[125:126], v[86:87]
	v_fma_f64 v[86:87], v[189:190], v[125:126], -v[88:89]
	v_fma_f64 v[88:89], v[145:146], v[133:134], -v[92:93]
	v_add_f64 v[92:93], v[98:99], v[16:17]
	v_mul_f64 v[96:97], v[153:154], v[179:180]
	v_mul_f64 v[121:122], v[28:29], v[179:180]
	;; [unrolled: 1-line block ×4, first 2 shown]
	v_fma_f64 v[129:130], v[94:95], s[4:5], v[82:83]
	v_add_f64 v[131:132], v[147:148], -v[149:150]
	v_fma_f64 v[98:99], v[127:128], -0.5, v[98:99]
	v_mul_f64 v[50:51], v[50:51], v[139:140]
	v_fma_f64 v[28:29], v[28:29], v[177:178], v[96:97]
	v_fma_f64 v[96:97], v[153:154], v[177:178], -v[121:122]
	v_fma_f64 v[54:55], v[54:55], v[173:174], v[123:124]
	v_fma_f64 v[121:122], v[191:192], v[173:174], -v[125:126]
	v_add_f64 v[125:126], v[16:17], -v[22:23]
	v_fma_f64 v[123:124], v[131:132], s[6:7], v[129:130]
	v_add_f64 v[129:130], v[30:31], -v[24:25]
	v_fma_f64 v[133:134], v[131:132], s[10:11], v[98:99]
	v_fma_f64 v[98:99], v[131:132], s[4:5], v[98:99]
	v_add_f64 v[92:93], v[92:93], v[22:23]
	v_fma_f64 v[50:51], v[187:188], v[137:138], -v[50:51]
	v_add_f64 v[127:128], v[147:148], v[149:150]
	v_fma_f64 v[82:83], v[94:95], s[10:11], v[82:83]
	v_add_f64 v[135:136], v[22:23], -v[16:17]
	v_add_f64 v[137:138], v[24:25], -v[30:31]
	v_add_f64 v[139:140], v[78:79], v[141:142]
	v_add_f64 v[125:126], v[125:126], v[129:130]
	v_fma_f64 v[129:130], v[94:95], s[6:7], v[133:134]
	v_fma_f64 v[94:95], v[94:95], s[14:15], v[98:99]
	v_add_f64 v[98:99], v[141:142], v[155:156]
	v_add_f64 v[92:93], v[92:93], v[24:25]
	v_fma_f64 v[127:128], v[127:128], -0.5, v[78:79]
	v_add_f64 v[16:17], v[16:17], -v[30:31]
	v_fma_f64 v[82:83], v[131:132], s[14:15], v[82:83]
	v_add_f64 v[131:132], v[135:136], v[137:138]
	v_add_f64 v[133:134], v[139:140], v[147:148]
	v_add_f64 v[22:23], v[22:23], -v[24:25]
	v_fma_f64 v[78:79], v[98:99], -0.5, v[78:79]
	v_add_f64 v[24:25], v[92:93], v[30:31]
	v_fma_f64 v[30:31], v[125:126], s[16:17], v[123:124]
	v_fma_f64 v[135:136], v[16:17], s[10:11], v[127:128]
	;; [unrolled: 1-line block ×4, first 2 shown]
	v_add_f64 v[98:99], v[133:134], v[149:150]
	v_add_f64 v[129:130], v[32:33], v[26:27]
	v_fma_f64 v[133:134], v[22:23], s[4:5], v[78:79]
	v_fma_f64 v[78:79], v[22:23], s[10:11], v[78:79]
	;; [unrolled: 1-line block ×5, first 2 shown]
	v_add_f64 v[125:126], v[141:142], -v[147:148]
	v_add_f64 v[131:132], v[155:156], -v[149:150]
	;; [unrolled: 1-line block ×4, first 2 shown]
	v_add_f64 v[139:140], v[4:5], v[18:19]
	v_fma_f64 v[129:130], v[129:130], -0.5, v[4:5]
	v_add_f64 v[141:142], v[58:59], -v[66:67]
	v_fma_f64 v[22:23], v[22:23], s[6:7], v[127:128]
	v_fma_f64 v[127:128], v[16:17], s[14:15], v[133:134]
	;; [unrolled: 1-line block ×3, first 2 shown]
	v_add_f64 v[78:79], v[18:19], v[36:37]
	v_add_f64 v[125:126], v[125:126], v[131:132]
	;; [unrolled: 1-line block ×4, first 2 shown]
	v_fma_f64 v[135:136], v[141:142], s[4:5], v[129:130]
	v_add_f64 v[137:138], v[62:63], -v[64:65]
	v_fma_f64 v[129:130], v[141:142], s[10:11], v[129:130]
	v_add_f64 v[143:144], v[32:33], -v[18:19]
	v_fma_f64 v[4:5], v[78:79], -0.5, v[4:5]
	v_fma_f64 v[123:124], v[125:126], s[16:17], v[123:124]
	v_fma_f64 v[125:126], v[125:126], s[16:17], v[22:23]
	;; [unrolled: 1-line block ×4, first 2 shown]
	v_add_f64 v[22:23], v[133:134], v[26:27]
	v_fma_f64 v[78:79], v[137:138], s[6:7], v[135:136]
	v_add_f64 v[131:132], v[18:19], -v[32:33]
	v_add_f64 v[133:134], v[62:63], v[64:65]
	v_add_f64 v[135:136], v[36:37], -v[26:27]
	v_fma_f64 v[139:140], v[137:138], s[10:11], v[4:5]
	v_add_f64 v[145:146], v[26:27], -v[36:37]
	v_fma_f64 v[4:5], v[137:138], s[4:5], v[4:5]
	v_add_f64 v[147:148], v[157:158], v[58:59]
	v_add_f64 v[18:19], v[18:19], -v[36:37]
	v_fma_f64 v[129:130], v[137:138], s[14:15], v[129:130]
	v_fma_f64 v[133:134], v[133:134], -0.5, v[157:158]
	v_add_f64 v[131:132], v[131:132], v[135:136]
	v_fma_f64 v[135:136], v[141:142], s[6:7], v[139:140]
	v_add_f64 v[139:140], v[58:59], v[66:67]
	v_add_f64 v[137:138], v[143:144], v[145:146]
	v_fma_f64 v[4:5], v[141:142], s[14:15], v[4:5]
	v_add_f64 v[141:142], v[147:148], v[62:63]
	v_add_f64 v[26:27], v[32:33], -v[26:27]
	v_fma_f64 v[143:144], v[18:19], s[10:11], v[133:134]
	v_add_f64 v[22:23], v[22:23], v[36:37]
	v_fma_f64 v[36:37], v[131:132], s[16:17], v[129:130]
	v_fma_f64 v[129:130], v[139:140], -0.5, v[157:158]
	v_fma_f64 v[32:33], v[131:132], s[16:17], v[78:79]
	v_fma_f64 v[78:79], v[137:138], s[16:17], v[135:136]
	;; [unrolled: 1-line block ×3, first 2 shown]
	v_add_f64 v[131:132], v[141:142], v[64:65]
	v_fma_f64 v[135:136], v[26:27], s[14:15], v[143:144]
	v_add_f64 v[137:138], v[58:59], -v[62:63]
	v_add_f64 v[141:142], v[66:67], -v[64:65]
	v_fma_f64 v[133:134], v[18:19], s[4:5], v[133:134]
	v_fma_f64 v[143:144], v[26:27], s[4:5], v[129:130]
	v_add_f64 v[58:59], v[62:63], -v[58:59]
	v_add_f64 v[62:63], v[64:65], -v[66:67]
	v_fma_f64 v[64:65], v[26:27], s[10:11], v[129:130]
	v_add_f64 v[139:140], v[34:35], v[44:45]
	v_add_f64 v[129:130], v[6:7], v[40:41]
	v_add_f64 v[145:146], v[68:69], -v[74:75]
	v_fma_f64 v[26:27], v[26:27], s[6:7], v[133:134]
	v_fma_f64 v[133:134], v[18:19], s[14:15], v[143:144]
	v_add_f64 v[137:138], v[137:138], v[141:142]
	v_add_f64 v[141:142], v[60:61], -v[72:73]
	v_fma_f64 v[18:19], v[18:19], s[6:7], v[64:65]
	v_add_f64 v[64:65], v[40:41], v[38:39]
	v_fma_f64 v[139:140], v[139:140], -0.5, v[6:7]
	v_add_f64 v[58:59], v[58:59], v[62:63]
	v_add_f64 v[62:63], v[129:130], v[34:35]
	v_add_f64 v[131:132], v[131:132], v[66:67]
	v_fma_f64 v[135:136], v[137:138], s[16:17], v[135:136]
	v_fma_f64 v[26:27], v[137:138], s[16:17], v[26:27]
	v_add_f64 v[137:138], v[38:39], -v[44:45]
	v_fma_f64 v[6:7], v[64:65], -0.5, v[6:7]
	v_fma_f64 v[129:130], v[145:146], s[4:5], v[139:140]
	v_add_f64 v[64:65], v[40:41], -v[34:35]
	v_fma_f64 v[139:140], v[145:146], s[10:11], v[139:140]
	v_fma_f64 v[133:134], v[58:59], s[16:17], v[133:134]
	v_fma_f64 v[18:19], v[58:59], s[16:17], v[18:19]
	v_add_f64 v[58:59], v[62:63], v[44:45]
	v_add_f64 v[66:67], v[159:160], v[68:69]
	v_fma_f64 v[143:144], v[141:142], s[10:11], v[6:7]
	v_fma_f64 v[62:63], v[141:142], s[6:7], v[129:130]
	v_add_f64 v[129:130], v[60:61], v[72:73]
	v_add_f64 v[147:148], v[34:35], -v[40:41]
	v_add_f64 v[149:150], v[44:45], -v[38:39]
	v_fma_f64 v[6:7], v[141:142], s[4:5], v[6:7]
	v_add_f64 v[64:65], v[64:65], v[137:138]
	v_fma_f64 v[137:138], v[141:142], s[14:15], v[139:140]
	v_fma_f64 v[139:140], v[145:146], s[6:7], v[143:144]
	v_add_f64 v[143:144], v[68:69], v[74:75]
	v_add_f64 v[66:67], v[66:67], v[60:61]
	v_fma_f64 v[129:130], v[129:130], -0.5, v[159:160]
	v_add_f64 v[40:41], v[40:41], -v[38:39]
	v_add_f64 v[141:142], v[147:148], v[149:150]
	v_fma_f64 v[6:7], v[145:146], s[14:15], v[6:7]
	v_add_f64 v[34:35], v[34:35], -v[44:45]
	v_add_f64 v[38:39], v[58:59], v[38:39]
	v_fma_f64 v[44:45], v[64:65], s[16:17], v[62:63]
	v_fma_f64 v[58:59], v[64:65], s[16:17], v[137:138]
	v_fma_f64 v[64:65], v[143:144], -0.5, v[159:160]
	v_add_f64 v[66:67], v[66:67], v[72:73]
	v_fma_f64 v[145:146], v[40:41], s[10:11], v[129:130]
	v_fma_f64 v[62:63], v[141:142], s[16:17], v[139:140]
	;; [unrolled: 1-line block ×3, first 2 shown]
	v_add_f64 v[139:140], v[68:69], -v[60:61]
	v_add_f64 v[141:142], v[74:75], -v[72:73]
	v_add_f64 v[143:144], v[0:1], v[42:43]
	v_fma_f64 v[147:148], v[34:35], s[4:5], v[64:65]
	v_fma_f64 v[64:65], v[34:35], s[10:11], v[64:65]
	v_add_f64 v[137:138], v[66:67], v[74:75]
	v_fma_f64 v[66:67], v[34:35], s[14:15], v[145:146]
	v_fma_f64 v[129:130], v[40:41], s[4:5], v[129:130]
	v_add_f64 v[145:146], v[48:49], v[46:47]
	v_add_f64 v[60:61], v[60:61], -v[68:69]
	v_add_f64 v[68:69], v[72:73], -v[74:75]
	v_add_f64 v[72:73], v[139:140], v[141:142]
	v_add_f64 v[74:75], v[143:144], v[48:49]
	v_fma_f64 v[141:142], v[40:41], s[14:15], v[147:148]
	v_fma_f64 v[40:41], v[40:41], s[6:7], v[64:65]
	v_add_f64 v[64:65], v[42:43], v[52:53]
	v_fma_f64 v[34:35], v[34:35], s[6:7], v[129:130]
	v_fma_f64 v[129:130], v[145:146], -0.5, v[0:1]
	v_add_f64 v[139:140], v[76:77], -v[86:87]
	v_add_f64 v[60:61], v[60:61], v[68:69]
	v_add_f64 v[68:69], v[74:75], v[46:47]
	v_fma_f64 v[74:75], v[72:73], s[16:17], v[66:67]
	v_add_f64 v[66:67], v[70:71], -v[84:85]
	v_fma_f64 v[0:1], v[64:65], -0.5, v[0:1]
	v_fma_f64 v[72:73], v[72:73], s[16:17], v[34:35]
	v_add_f64 v[64:65], v[52:53], -v[46:47]
	v_fma_f64 v[34:35], v[139:140], s[4:5], v[129:130]
	v_fma_f64 v[141:142], v[60:61], s[16:17], v[141:142]
	;; [unrolled: 1-line block ×3, first 2 shown]
	v_add_f64 v[40:41], v[68:69], v[52:53]
	v_add_f64 v[60:61], v[42:43], -v[48:49]
	v_fma_f64 v[68:69], v[139:140], s[10:11], v[129:130]
	v_add_f64 v[129:130], v[8:9], v[76:77]
	v_add_f64 v[145:146], v[70:71], v[84:85]
	v_fma_f64 v[147:148], v[66:67], s[10:11], v[0:1]
	v_add_f64 v[149:150], v[48:49], -v[42:43]
	v_add_f64 v[151:152], v[46:47], -v[52:53]
	v_fma_f64 v[34:35], v[66:67], s[6:7], v[34:35]
	v_add_f64 v[60:61], v[60:61], v[64:65]
	v_fma_f64 v[64:65], v[66:67], s[14:15], v[68:69]
	v_fma_f64 v[0:1], v[66:67], s[4:5], v[0:1]
	v_add_f64 v[66:67], v[129:130], v[70:71]
	v_fma_f64 v[68:69], v[145:146], -0.5, v[8:9]
	v_add_f64 v[42:43], v[42:43], -v[52:53]
	v_fma_f64 v[52:53], v[139:140], s[6:7], v[147:148]
	v_add_f64 v[129:130], v[149:150], v[151:152]
	v_fma_f64 v[34:35], v[60:61], s[16:17], v[34:35]
	v_fma_f64 v[60:61], v[60:61], s[16:17], v[64:65]
	;; [unrolled: 1-line block ×3, first 2 shown]
	v_add_f64 v[64:65], v[66:67], v[84:85]
	v_add_f64 v[66:67], v[76:77], v[86:87]
	v_fma_f64 v[139:140], v[42:43], s[10:11], v[68:69]
	v_add_f64 v[46:47], v[48:49], -v[46:47]
	v_fma_f64 v[48:49], v[129:130], s[16:17], v[52:53]
	v_add_f64 v[52:53], v[90:91], v[28:29]
	v_add_f64 v[145:146], v[76:77], -v[70:71]
	v_add_f64 v[147:148], v[86:87], -v[84:85]
	v_fma_f64 v[0:1], v[129:130], s[16:17], v[0:1]
	v_fma_f64 v[8:9], v[66:67], -0.5, v[8:9]
	v_add_f64 v[129:130], v[64:65], v[86:87]
	v_fma_f64 v[64:65], v[46:47], s[14:15], v[139:140]
	v_add_f64 v[66:67], v[2:3], v[20:21]
	v_fma_f64 v[52:53], v[52:53], -0.5, v[2:3]
	v_add_f64 v[139:140], v[88:89], -v[121:122]
	v_fma_f64 v[68:69], v[42:43], s[4:5], v[68:69]
	v_add_f64 v[145:146], v[145:146], v[147:148]
	v_fma_f64 v[147:148], v[46:47], s[4:5], v[8:9]
	v_add_f64 v[70:71], v[70:71], -v[76:77]
	v_add_f64 v[76:77], v[84:85], -v[86:87]
	v_fma_f64 v[8:9], v[46:47], s[10:11], v[8:9]
	v_add_f64 v[66:67], v[66:67], v[90:91]
	v_fma_f64 v[84:85], v[139:140], s[4:5], v[52:53]
	v_add_f64 v[86:87], v[50:51], -v[96:97]
	v_add_f64 v[149:150], v[20:21], -v[90:91]
	;; [unrolled: 1-line block ×3, first 2 shown]
	v_fma_f64 v[46:47], v[46:47], s[6:7], v[68:69]
	v_add_f64 v[68:69], v[20:21], v[54:55]
	v_fma_f64 v[147:148], v[42:43], s[14:15], v[147:148]
	v_add_f64 v[70:71], v[70:71], v[76:77]
	;; [unrolled: 2-line block ×4, first 2 shown]
	v_add_f64 v[84:85], v[88:89], v[121:122]
	v_fma_f64 v[2:3], v[68:69], -0.5, v[2:3]
	v_fma_f64 v[68:69], v[145:146], s[16:17], v[46:47]
	v_add_f64 v[46:47], v[50:51], v[96:97]
	v_fma_f64 v[149:150], v[145:146], s[16:17], v[64:65]
	v_fma_f64 v[145:146], v[70:71], s[16:17], v[147:148]
	;; [unrolled: 1-line block ×6, first 2 shown]
	v_add_f64 v[70:71], v[90:91], -v[20:21]
	v_add_f64 v[147:148], v[28:29], -v[54:55]
	v_add_f64 v[151:152], v[10:11], v[88:89]
	v_fma_f64 v[46:47], v[46:47], -0.5, v[10:11]
	v_add_f64 v[20:21], v[20:21], -v[54:55]
	v_add_f64 v[28:29], v[90:91], -v[28:29]
	v_fma_f64 v[10:11], v[84:85], -0.5, v[10:11]
	v_fma_f64 v[2:3], v[86:87], s[4:5], v[2:3]
	v_add_f64 v[42:43], v[42:43], v[54:55]
	v_fma_f64 v[52:53], v[86:87], s[14:15], v[52:53]
	v_fma_f64 v[54:55], v[139:140], s[6:7], v[66:67]
	v_add_f64 v[66:67], v[70:71], v[147:148]
	v_add_f64 v[70:71], v[151:152], v[50:51]
	v_fma_f64 v[84:85], v[20:21], s[10:11], v[46:47]
	v_add_f64 v[86:87], v[88:89], -v[50:51]
	v_add_f64 v[90:91], v[121:122], -v[96:97]
	v_fma_f64 v[46:47], v[20:21], s[4:5], v[46:47]
	v_fma_f64 v[147:148], v[28:29], s[4:5], v[10:11]
	v_add_f64 v[50:51], v[50:51], -v[88:89]
	v_add_f64 v[88:89], v[96:97], -v[121:122]
	v_fma_f64 v[10:11], v[28:29], s[10:11], v[10:11]
	v_fma_f64 v[2:3], v[139:140], s[14:15], v[2:3]
	ds_write2_b64 v102, v[24:25], v[30:31] offset1:65
	ds_write2_b64 v102, v[92:93], v[94:95] offset0:130 offset1:195
	ds_write2_b64 v109, v[82:83], v[22:23] offset0:4 offset1:69
	;; [unrolled: 1-line block ×4, first 2 shown]
	v_lshlrev_b32_sdwa v4, v12, v13 dst_sel:DWORD dst_unused:UNUSED_PAD src0_sel:DWORD src1_sel:BYTE_0
	v_fma_f64 v[84:85], v[28:29], s[14:15], v[84:85]
	v_add_f64 v[86:87], v[86:87], v[90:91]
	v_fma_f64 v[28:29], v[28:29], s[6:7], v[46:47]
	v_fma_f64 v[46:47], v[20:21], s[14:15], v[147:148]
	v_add_f64 v[50:51], v[50:51], v[88:89]
	v_fma_f64 v[10:11], v[20:21], s[6:7], v[10:11]
	v_add3_u32 v4, 0, v4, v113
	v_fma_f64 v[20:21], v[76:77], s[16:17], v[52:53]
	v_fma_f64 v[52:53], v[66:67], s[16:17], v[54:55]
	;; [unrolled: 1-line block ×3, first 2 shown]
	v_add_u32_e32 v5, 0x1000, v4
	v_add_u32_e32 v24, 0x1800, v4
	ds_write2_b64 v5, v[38:39], v[44:45] offset0:138 offset1:203
	ds_write2_b64 v24, v[62:63], v[6:7] offset0:12 offset1:77
	ds_write_b64 v4, v[58:59] offset:7280
	v_lshlrev_b32_e32 v6, 3, v14
	v_add3_u32 v6, 0, v6, v113
	v_add_u32_e32 v7, 0x1c00, v6
	v_add_u32_e32 v25, 0x2000, v6
	ds_write2_b64 v7, v[40:41], v[34:35] offset0:79 offset1:144
	ds_write2_b64 v25, v[48:49], v[0:1] offset0:81 offset1:146
	ds_write_b64 v6, v[60:61] offset:9880
	v_lshlrev_b32_e32 v0, 3, v15
	v_add3_u32 v56, 0, v0, v113
	v_add_u32_e32 v58, 0x2800, v56
	v_fma_f64 v[76:77], v[86:87], s[16:17], v[84:85]
	v_fma_f64 v[86:87], v[86:87], s[16:17], v[28:29]
	;; [unrolled: 1-line block ×4, first 2 shown]
	ds_write2_b64 v58, v[42:43], v[64:65] offset0:20 offset1:85
	ds_write2_b64 v58, v[52:53], v[2:3] offset0:150 offset1:215
	ds_write_b64 v56, v[20:21] offset:12480
	s_waitcnt lgkmcnt(0)
	s_barrier
	ds_read_b64 v[84:85], v101
	ds_read2_b64 v[28:31], v109 offset0:69 offset1:134
	ds_read2_b64 v[36:39], v110 offset0:73 offset1:138
	;; [unrolled: 1-line block ×12, first 2 shown]
	v_add_f64 v[98:99], v[98:99], v[155:156]
	v_add_f64 v[70:71], v[70:71], v[96:97]
	s_waitcnt lgkmcnt(0)
	s_barrier
	v_add_f64 v[70:71], v[70:71], v[121:122]
	ds_write2_b64 v102, v[98:99], v[123:124] offset1:65
	ds_write2_b64 v102, v[127:128], v[16:17] offset0:130 offset1:195
	ds_write2_b64 v109, v[125:126], v[131:132] offset0:4 offset1:69
	;; [unrolled: 1-line block ×6, first 2 shown]
	ds_write_b64 v4, v[72:73] offset:7280
	ds_write2_b64 v7, v[129:130], v[149:150] offset0:79 offset1:144
	ds_write2_b64 v25, v[145:146], v[8:9] offset0:81 offset1:146
	ds_write_b64 v6, v[68:69] offset:9880
	ds_write2_b64 v58, v[70:71], v[76:77] offset0:20 offset1:85
	ds_write2_b64 v58, v[88:89], v[10:11] offset0:150 offset1:215
	ds_write_b64 v56, v[86:87] offset:12480
	s_waitcnt lgkmcnt(0)
	s_barrier
	s_and_saveexec_b64 s[0:1], vcc
	s_cbranch_execz .LBB0_19
; %bb.18:
	v_lshlrev_b32_e32 v56, 2, v103
	v_lshlrev_b64 v[4:5], 4, v[56:57]
	v_mov_b32_e32 v76, s9
	v_add_co_u32_e32 v4, vcc, s8, v4
	v_addc_co_u32_e32 v5, vcc, v76, v5, vcc
	v_add_co_u32_e32 v58, vcc, 0x1380, v4
	v_addc_co_u32_e32 v59, vcc, 0, v5, vcc
	;; [unrolled: 2-line block ×3, first 2 shown]
	global_load_dwordx4 v[4:7], v[68:69], off offset:896
	global_load_dwordx4 v[8:11], v[58:59], off offset:48
	global_load_dwordx4 v[16:19], v[58:59], off offset:32
	global_load_dwordx4 v[24:27], v[58:59], off offset:16
	v_lshlrev_b32_e32 v56, 2, v107
	v_lshlrev_b64 v[58:59], 4, v[56:57]
	s_movk_i32 s0, 0x1380
	v_add_co_u32_e32 v56, vcc, s8, v58
	v_addc_co_u32_e32 v69, vcc, v76, v59, vcc
	v_add_co_u32_e32 v58, vcc, s0, v56
	s_movk_i32 s1, 0x1000
	v_addc_co_u32_e32 v59, vcc, 0, v69, vcc
	v_add_co_u32_e32 v68, vcc, s1, v56
	v_addc_co_u32_e32 v69, vcc, 0, v69, vcc
	global_load_dwordx4 v[86:89], v[58:59], off offset:16
	global_load_dwordx4 v[90:93], v[68:69], off offset:896
	;; [unrolled: 1-line block ×3, first 2 shown]
	v_add_u32_e32 v56, 0x1800, v102
	v_add_u32_e32 v68, 0x1000, v102
	;; [unrolled: 1-line block ×6, first 2 shown]
	ds_read2_b64 v[109:112], v56 offset0:77 offset1:142
	ds_read2_b64 v[72:75], v68 offset0:73 offset1:138
	;; [unrolled: 1-line block ×6, first 2 shown]
	global_load_dwordx4 v[125:128], v[58:59], off offset:48
	v_lshlrev_b32_e32 v56, 2, v108
	v_lshlrev_b64 v[77:78], 4, v[56:57]
	v_add_co_u32_e32 v56, vcc, s8, v77
	v_addc_co_u32_e32 v78, vcc, v76, v78, vcc
	v_add_co_u32_e32 v58, vcc, s0, v56
	v_addc_co_u32_e32 v59, vcc, 0, v78, vcc
	;; [unrolled: 2-line block ×3, first 2 shown]
	global_load_dwordx4 v[129:132], v[77:78], off offset:896
	global_load_dwordx4 v[133:136], v[58:59], off offset:48
	;; [unrolled: 1-line block ×4, first 2 shown]
	v_add_u32_e32 v56, 0x2000, v102
	s_waitcnt vmcnt(11)
	v_mul_f64 v[82:83], v[36:37], v[6:7]
	s_waitcnt vmcnt(10)
	v_mul_f64 v[98:99], v[2:3], v[10:11]
	s_waitcnt vmcnt(9) lgkmcnt(3)
	v_mul_f64 v[77:78], v[68:69], v[18:19]
	s_waitcnt vmcnt(8)
	v_mul_f64 v[58:59], v[14:15], v[26:27]
	v_mul_f64 v[26:27], v[111:112], v[26:27]
	;; [unrolled: 1-line block ×4, first 2 shown]
	s_waitcnt lgkmcnt(2)
	v_mul_f64 v[10:11], v[115:116], v[10:11]
	v_fma_f64 v[58:59], v[111:112], v[24:25], -v[58:59]
	v_fma_f64 v[24:25], v[14:15], v[24:25], v[26:27]
	v_fma_f64 v[26:27], v[32:33], v[16:17], v[77:78]
	v_fma_f64 v[14:15], v[68:69], v[16:17], -v[18:19]
	v_fma_f64 v[18:19], v[72:73], v[4:5], -v[82:83]
	;; [unrolled: 1-line block ×3, first 2 shown]
	v_fma_f64 v[36:37], v[36:37], v[4:5], v[6:7]
	v_fma_f64 v[72:73], v[2:3], v[8:9], v[10:11]
	s_waitcnt vmcnt(6)
	v_mul_f64 v[32:33], v[22:23], v[92:93]
	v_mul_f64 v[16:17], v[12:13], v[88:89]
	v_add_f64 v[6:7], v[24:25], v[26:27]
	v_add_f64 v[4:5], v[58:59], v[14:15]
	v_add_f64 v[8:9], v[58:59], -v[18:19]
	v_add_f64 v[10:11], v[14:15], -v[68:69]
	v_add_f64 v[82:83], v[18:19], v[68:69]
	v_add_f64 v[151:152], v[36:37], v[72:73]
	v_add_f64 v[2:3], v[24:25], -v[26:27]
	v_add_f64 v[77:78], v[58:59], -v[14:15]
	;; [unrolled: 1-line block ×5, first 2 shown]
	s_waitcnt lgkmcnt(1)
	v_add_f64 v[145:146], v[18:19], v[119:120]
	v_fma_f64 v[4:5], v[4:5], -0.5, v[119:120]
	v_fma_f64 v[157:158], v[6:7], -0.5, v[54:55]
	;; [unrolled: 1-line block ×3, first 2 shown]
	v_add_f64 v[8:9], v[8:9], v[10:11]
	v_fma_f64 v[10:11], v[151:152], -0.5, v[54:55]
	v_add_f64 v[147:148], v[24:25], -v[36:37]
	v_add_f64 v[149:150], v[26:27], -v[72:73]
	;; [unrolled: 1-line block ×3, first 2 shown]
	v_add_f64 v[82:83], v[111:112], v[115:116]
	v_add_f64 v[58:59], v[58:59], v[145:146]
	v_fma_f64 v[115:116], v[98:99], s[4:5], v[4:5]
	v_fma_f64 v[119:120], v[2:3], s[10:11], v[6:7]
	;; [unrolled: 1-line block ×5, first 2 shown]
	v_add_f64 v[111:112], v[147:148], v[149:150]
	v_fma_f64 v[4:5], v[98:99], s[10:11], v[4:5]
	v_add_f64 v[14:15], v[14:15], v[58:59]
	v_fma_f64 v[58:59], v[2:3], s[6:7], v[115:116]
	v_fma_f64 v[115:116], v[98:99], s[6:7], v[119:120]
	;; [unrolled: 1-line block ×5, first 2 shown]
	v_add_f64 v[18:19], v[36:37], -v[24:25]
	v_add_f64 v[155:156], v[72:73], -v[26:27]
	v_fma_f64 v[4:5], v[2:3], s[14:15], v[4:5]
	v_fma_f64 v[2:3], v[82:83], s[16:17], v[58:59]
	;; [unrolled: 1-line block ×4, first 2 shown]
	s_waitcnt vmcnt(4)
	v_mul_f64 v[58:59], v[0:1], v[127:128]
	v_fma_f64 v[8:9], v[111:112], s[16:17], v[145:146]
	ds_read2_b64 v[145:148], v56 offset0:81 offset1:146
	v_add_f64 v[149:150], v[18:19], v[155:156]
	v_add_f64 v[18:19], v[68:69], v[14:15]
	v_mul_f64 v[68:69], v[46:47], v[96:97]
	v_add_f64 v[36:37], v[54:55], v[36:37]
	v_mul_f64 v[54:55], v[109:110], v[88:89]
	s_waitcnt lgkmcnt(0)
	v_mul_f64 v[88:89], v[147:148], v[96:97]
	v_mul_f64 v[92:93], v[123:124], v[92:93]
	v_mul_f64 v[96:97], v[113:114], v[127:128]
	v_fma_f64 v[32:33], v[123:124], v[90:91], -v[32:33]
	v_fma_f64 v[58:59], v[113:114], v[125:126], -v[58:59]
	;; [unrolled: 1-line block ×4, first 2 shown]
	v_add_f64 v[24:25], v[24:25], v[36:37]
	v_fma_f64 v[127:128], v[46:47], v[94:95], v[88:89]
	v_fma_f64 v[94:95], v[22:23], v[90:91], v[92:93]
	;; [unrolled: 1-line block ×5, first 2 shown]
	v_add_f64 v[46:47], v[32:33], v[58:59]
	v_fma_f64 v[12:13], v[153:154], s[4:5], v[157:158]
	v_add_f64 v[36:37], v[16:17], -v[32:33]
	v_add_f64 v[22:23], v[68:69], -v[58:59]
	v_add_f64 v[86:87], v[16:17], v[68:69]
	v_add_f64 v[24:25], v[24:25], v[26:27]
	;; [unrolled: 1-line block ×3, first 2 shown]
	v_fma_f64 v[14:15], v[82:83], s[16:17], v[4:5]
	v_fma_f64 v[82:83], v[77:78], s[14:15], v[151:152]
	v_add_f64 v[54:55], v[98:99], -v[127:128]
	v_fma_f64 v[46:47], v[46:47], -0.5, v[117:118]
	v_fma_f64 v[12:13], v[77:78], s[6:7], v[12:13]
	v_add_f64 v[22:23], v[36:37], v[22:23]
	v_add_f64 v[36:37], v[94:95], -v[125:126]
	v_fma_f64 v[77:78], v[86:87], -0.5, v[117:118]
	v_add_f64 v[86:87], v[32:33], v[117:118]
	v_fma_f64 v[96:97], v[26:27], -0.5, v[52:53]
	v_add_f64 v[147:148], v[16:17], -v[68:69]
	v_fma_f64 v[0:1], v[149:150], s[16:17], v[82:83]
	v_fma_f64 v[82:83], v[54:55], s[10:11], v[46:47]
	v_fma_f64 v[46:47], v[54:55], s[4:5], v[46:47]
	v_add_f64 v[88:89], v[32:33], -v[16:17]
	v_add_f64 v[26:27], v[58:59], -v[68:69]
	v_fma_f64 v[90:91], v[36:37], s[4:5], v[77:78]
	v_fma_f64 v[77:78], v[36:37], s[10:11], v[77:78]
	v_add_f64 v[16:17], v[16:17], v[86:87]
	v_add_f64 v[86:87], v[98:99], -v[94:95]
	v_add_f64 v[92:93], v[127:128], -v[125:126]
	;; [unrolled: 1-line block ×3, first 2 shown]
	v_fma_f64 v[109:110], v[147:148], s[4:5], v[96:97]
	v_fma_f64 v[82:83], v[36:37], s[6:7], v[82:83]
	;; [unrolled: 1-line block ×3, first 2 shown]
	v_add_f64 v[88:89], v[88:89], v[26:27]
	v_fma_f64 v[90:91], v[54:55], s[6:7], v[90:91]
	v_fma_f64 v[54:55], v[54:55], s[14:15], v[77:78]
	v_add_f64 v[77:78], v[86:87], v[92:93]
	v_add_f64 v[68:69], v[68:69], v[16:17]
	v_fma_f64 v[86:87], v[32:33], s[14:15], v[109:110]
	v_add_f64 v[16:17], v[24:25], v[72:73]
	v_fma_f64 v[46:47], v[22:23], s[16:17], v[36:37]
	s_waitcnt vmcnt(3)
	v_mul_f64 v[36:37], v[20:21], v[131:132]
	s_waitcnt vmcnt(2)
	v_mul_f64 v[72:73], v[62:63], v[135:136]
	v_add_u32_e32 v56, 0x1400, v102
	v_fma_f64 v[26:27], v[22:23], s[16:17], v[82:83]
	v_fma_f64 v[22:23], v[88:89], s[16:17], v[90:91]
	;; [unrolled: 1-line block ×4, first 2 shown]
	ds_read2_b64 v[86:89], v56 offset0:75 offset1:140
	v_add_u32_e32 v56, 0x2800, v102
	ds_read2_b64 v[90:93], v56 offset0:85 offset1:150
	v_lshlrev_b32_e32 v56, 2, v100
	v_add_f64 v[58:59], v[58:59], v[68:69]
	v_add_f64 v[68:69], v[98:99], v[127:128]
	v_fma_f64 v[82:83], v[147:148], s[10:11], v[96:97]
	v_fma_f64 v[36:37], v[121:122], v[129:130], -v[36:37]
	s_waitcnt vmcnt(0) lgkmcnt(1)
	v_mul_f64 v[96:97], v[88:89], v[143:144]
	v_mul_f64 v[109:110], v[145:146], v[139:140]
	s_waitcnt lgkmcnt(0)
	v_fma_f64 v[72:73], v[92:93], v[133:134], -v[72:73]
	v_lshlrev_b64 v[56:57], 4, v[56:57]
	v_mul_f64 v[143:144], v[66:67], v[143:144]
	v_add_co_u32_e32 v79, vcc, s8, v56
	v_addc_co_u32_e32 v76, vcc, v76, v57, vcc
	v_add_co_u32_e32 v56, vcc, s0, v79
	v_addc_co_u32_e32 v57, vcc, 0, v76, vcc
	v_mul_f64 v[139:140], v[44:45], v[139:140]
	v_add_co_u32_e32 v113, vcc, s1, v79
	v_addc_co_u32_e32 v114, vcc, 0, v76, vcc
	v_fma_f64 v[4:5], v[111:112], s[16:17], v[119:120]
	v_fma_f64 v[12:13], v[149:150], s[16:17], v[12:13]
	v_add_f64 v[149:150], v[94:95], -v[98:99]
	v_fma_f64 v[68:69], v[68:69], -0.5, v[52:53]
	v_add_f64 v[52:53], v[52:53], v[94:95]
	v_fma_f64 v[151:152], v[66:67], v[141:142], v[96:97]
	v_fma_f64 v[153:154], v[44:45], v[137:138], v[109:110]
	v_add_f64 v[44:45], v[36:37], v[72:73]
	v_mul_f64 v[66:67], v[121:122], v[131:132]
	global_load_dwordx4 v[94:97], v[56:57], off offset:32
	global_load_dwordx4 v[109:112], v[56:57], off offset:16
	s_nop 0
	global_load_dwordx4 v[113:116], v[113:114], off offset:896
	v_mul_f64 v[92:93], v[92:93], v[135:136]
	global_load_dwordx4 v[121:124], v[56:57], off offset:48
	ds_read2_b64 v[117:120], v102 offset0:65 offset1:130
	v_fma_f64 v[88:89], v[88:89], v[141:142], -v[143:144]
	v_fma_f64 v[131:132], v[145:146], v[137:138], -v[139:140]
	v_add_f64 v[135:136], v[151:152], -v[153:154]
	v_fma_f64 v[155:156], v[20:21], v[129:130], v[66:67]
	s_waitcnt lgkmcnt(0)
	v_fma_f64 v[56:57], v[44:45], -0.5, v[119:120]
	v_fma_f64 v[92:93], v[62:63], v[133:134], v[92:93]
	v_add_f64 v[20:21], v[125:126], -v[127:128]
	v_fma_f64 v[44:45], v[32:33], s[10:11], v[68:69]
	v_fma_f64 v[62:63], v[32:33], s[4:5], v[68:69]
	v_add_f64 v[66:67], v[88:89], -v[36:37]
	v_add_f64 v[68:69], v[131:132], -v[72:73]
	v_add_f64 v[52:53], v[98:99], v[52:53]
	v_fma_f64 v[98:99], v[135:136], s[10:11], v[56:57]
	v_add_f64 v[129:130], v[155:156], -v[92:93]
	v_fma_f64 v[32:33], v[32:33], s[6:7], v[82:83]
	v_add_f64 v[82:83], v[149:150], v[20:21]
	v_fma_f64 v[62:63], v[147:148], s[6:7], v[62:63]
	v_fma_f64 v[20:21], v[147:148], s[14:15], v[44:45]
	v_add_f64 v[66:67], v[66:67], v[68:69]
	v_add_f64 v[68:69], v[88:89], v[131:132]
	;; [unrolled: 1-line block ×3, first 2 shown]
	v_fma_f64 v[98:99], v[129:130], s[6:7], v[98:99]
	v_fma_f64 v[44:45], v[77:78], s[16:17], v[32:33]
	v_add_f64 v[76:77], v[155:156], v[92:93]
	v_fma_f64 v[52:53], v[82:83], s[16:17], v[62:63]
	v_fma_f64 v[32:33], v[135:136], s[4:5], v[56:57]
	v_add_f64 v[78:79], v[36:37], v[119:120]
	v_fma_f64 v[62:63], v[68:69], -0.5, v[119:120]
	v_fma_f64 v[20:21], v[82:83], s[16:17], v[20:21]
	v_fma_f64 v[68:69], v[66:67], s[16:17], v[98:99]
	v_add_f64 v[98:99], v[88:89], -v[131:132]
	v_fma_f64 v[76:77], v[76:77], -0.5, v[50:51]
	v_add_f64 v[56:57], v[127:128], v[125:126]
	v_add_f64 v[82:83], v[36:37], -v[88:89]
	v_add_f64 v[119:120], v[72:73], -v[131:132]
	v_fma_f64 v[125:126], v[129:130], s[4:5], v[62:63]
	v_fma_f64 v[32:33], v[129:130], s[14:15], v[32:33]
	;; [unrolled: 1-line block ×3, first 2 shown]
	v_add_f64 v[78:79], v[88:89], v[78:79]
	v_add_f64 v[88:89], v[151:152], -v[155:156]
	v_add_f64 v[127:128], v[153:154], -v[92:93]
	;; [unrolled: 1-line block ×3, first 2 shown]
	v_fma_f64 v[129:130], v[98:99], s[4:5], v[76:77]
	v_add_f64 v[82:83], v[82:83], v[119:120]
	v_fma_f64 v[119:120], v[135:136], s[6:7], v[125:126]
	v_add_f64 v[125:126], v[151:152], v[153:154]
	;; [unrolled: 2-line block ×3, first 2 shown]
	v_add_f64 v[88:89], v[88:89], v[127:128]
	v_add_f64 v[133:134], v[92:93], -v[153:154]
	v_fma_f64 v[127:128], v[36:37], s[14:15], v[129:130]
	v_add_f64 v[129:130], v[155:156], -v[151:152]
	v_fma_f64 v[78:79], v[66:67], s[16:17], v[32:33]
	v_fma_f64 v[32:33], v[82:83], s[16:17], v[119:120]
	v_add_co_u32_e32 v119, vcc, s1, v80
	v_addc_co_u32_e32 v120, vcc, 0, v81, vcc
	v_fma_f64 v[149:150], v[125:126], -0.5, v[50:51]
	v_fma_f64 v[66:67], v[88:89], s[16:17], v[127:128]
	global_load_dwordx4 v[125:128], v[119:120], off offset:896
	v_add_co_u32_e32 v80, vcc, s0, v80
	v_addc_co_u32_e32 v81, vcc, 0, v81, vcc
	v_fma_f64 v[62:63], v[82:83], s[16:17], v[62:63]
	v_add_f64 v[82:83], v[72:73], v[131:132]
	v_add_f64 v[72:73], v[129:130], v[133:134]
	global_load_dwordx4 v[129:132], v[80:81], off offset:48
	global_load_dwordx4 v[133:136], v[80:81], off offset:32
	;; [unrolled: 1-line block ×3, first 2 shown]
	v_fma_f64 v[76:77], v[98:99], s[10:11], v[76:77]
	v_add_u32_e32 v141, 0x800, v102
	v_add_u32_e32 v102, 0x1c00, v102
	ds_read2_b64 v[141:144], v141 offset0:69 offset1:134
	ds_read2_b64 v[145:148], v102 offset0:79 offset1:144
	s_waitcnt vmcnt(7)
	v_mul_f64 v[159:160], v[42:43], v[96:97]
	s_waitcnt vmcnt(6)
	v_mul_f64 v[80:81], v[64:65], v[111:112]
	;; [unrolled: 2-line block ×3, first 2 shown]
	v_fma_f64 v[76:77], v[36:37], s[6:7], v[76:77]
	s_waitcnt vmcnt(4)
	v_mul_f64 v[157:158], v[60:61], v[123:124]
	v_mul_f64 v[111:112], v[86:87], v[111:112]
	s_waitcnt lgkmcnt(0)
	v_mul_f64 v[96:97], v[147:148], v[96:97]
	v_add_f64 v[50:51], v[50:51], v[155:156]
	v_fma_f64 v[147:148], v[147:148], v[94:95], -v[159:160]
	v_fma_f64 v[86:87], v[86:87], v[109:110], -v[80:81]
	;; [unrolled: 1-line block ×3, first 2 shown]
	v_fma_f64 v[76:77], v[88:89], s[16:17], v[76:77]
	v_fma_f64 v[88:89], v[36:37], s[10:11], v[149:150]
	;; [unrolled: 1-line block ×3, first 2 shown]
	v_fma_f64 v[149:150], v[90:91], v[121:122], -v[157:158]
	v_mul_f64 v[80:81], v[143:144], v[115:116]
	v_mul_f64 v[90:91], v[90:91], v[123:124]
	v_fma_f64 v[64:65], v[64:65], v[109:110], v[111:112]
	v_fma_f64 v[94:95], v[42:43], v[94:95], v[96:97]
	v_add_f64 v[50:51], v[151:152], v[50:51]
	v_fma_f64 v[88:89], v[98:99], s[14:15], v[88:89]
	v_fma_f64 v[36:37], v[98:99], s[6:7], v[36:37]
	v_add_f64 v[42:43], v[119:120], v[149:150]
	;; [unrolled: 3-line block ×3, first 2 shown]
	v_add_f64 v[98:99], v[64:65], -v[94:95]
	v_add_f64 v[109:110], v[147:148], -v[149:150]
	v_fma_f64 v[30:31], v[72:73], s[16:17], v[88:89]
	v_fma_f64 v[60:61], v[72:73], s[16:17], v[36:37]
	v_fma_f64 v[42:43], v[42:43], -0.5, v[117:118]
	v_add_f64 v[36:37], v[50:51], v[153:154]
	v_add_f64 v[72:73], v[96:97], -v[90:91]
	v_fma_f64 v[88:89], v[80:81], -0.5, v[117:118]
	v_add_f64 v[50:51], v[86:87], -v[119:120]
	v_add_f64 v[113:114], v[119:120], -v[86:87]
	;; [unrolled: 1-line block ×3, first 2 shown]
	v_add_f64 v[121:122], v[96:97], v[90:91]
	v_fma_f64 v[111:112], v[98:99], s[10:11], v[42:43]
	v_fma_f64 v[42:43], v[98:99], s[4:5], v[42:43]
	v_add_f64 v[80:81], v[36:37], v[92:93]
	v_fma_f64 v[36:37], v[72:73], s[4:5], v[88:89]
	v_add_f64 v[50:51], v[50:51], v[109:110]
	v_add_f64 v[92:93], v[119:120], v[117:118]
	v_add_f64 v[119:120], v[119:120], -v[149:150]
	v_add_f64 v[123:124], v[94:95], -v[90:91]
	v_fma_f64 v[109:110], v[72:73], s[6:7], v[111:112]
	v_fma_f64 v[42:43], v[72:73], s[14:15], v[42:43]
	v_add_f64 v[111:112], v[113:114], v[115:116]
	v_fma_f64 v[113:114], v[121:122], -0.5, v[48:49]
	v_add_f64 v[115:116], v[86:87], -v[147:148]
	v_fma_f64 v[117:118], v[98:99], s[6:7], v[36:37]
	v_fma_f64 v[72:73], v[72:73], s[10:11], v[88:89]
	v_add_f64 v[121:122], v[64:65], v[94:95]
	v_fma_f64 v[88:89], v[50:51], s[16:17], v[109:110]
	v_fma_f64 v[36:37], v[50:51], s[16:17], v[42:43]
	v_add_f64 v[86:87], v[86:87], v[92:93]
	v_add_f64 v[92:93], v[64:65], -v[96:97]
	v_fma_f64 v[143:144], v[115:116], s[4:5], v[113:114]
	v_fma_f64 v[42:43], v[111:112], s[16:17], v[117:118]
	;; [unrolled: 1-line block ×3, first 2 shown]
	v_fma_f64 v[98:99], v[121:122], -0.5, v[48:49]
	v_fma_f64 v[109:110], v[115:116], s[10:11], v[113:114]
	v_add_f64 v[113:114], v[96:97], -v[64:65]
	v_add_f64 v[117:118], v[90:91], -v[94:95]
	v_add_f64 v[92:93], v[92:93], v[123:124]
	s_waitcnt vmcnt(3)
	v_mul_f64 v[121:122], v[28:29], v[127:128]
	v_add_f64 v[72:73], v[147:148], v[86:87]
	v_fma_f64 v[50:51], v[111:112], s[16:17], v[50:51]
	v_fma_f64 v[111:112], v[119:120], s[10:11], v[98:99]
	;; [unrolled: 1-line block ×4, first 2 shown]
	v_add_f64 v[113:114], v[113:114], v[117:118]
	s_waitcnt vmcnt(2)
	v_mul_f64 v[117:118], v[34:35], v[131:132]
	v_fma_f64 v[121:122], v[141:142], v[125:126], -v[121:122]
	s_waitcnt vmcnt(0)
	v_mul_f64 v[123:124], v[74:75], v[139:140]
	v_fma_f64 v[109:110], v[119:120], s[6:7], v[109:110]
	v_fma_f64 v[111:112], v[115:116], s[14:15], v[111:112]
	v_fma_f64 v[98:99], v[115:116], s[6:7], v[98:99]
	v_mul_f64 v[115:116], v[40:41], v[135:136]
	v_mul_f64 v[135:136], v[145:146], v[135:136]
	v_fma_f64 v[117:118], v[70:71], v[129:130], -v[117:118]
	v_mul_f64 v[119:120], v[38:39], v[139:140]
	v_add_f64 v[48:49], v[48:49], v[96:97]
	v_mul_f64 v[96:97], v[141:142], v[127:128]
	v_mul_f64 v[70:71], v[70:71], v[131:132]
	v_fma_f64 v[38:39], v[38:39], v[137:138], v[123:124]
	ds_read_b64 v[101:102], v101
	v_fma_f64 v[123:124], v[40:41], v[133:134], v[135:136]
	v_add_f64 v[40:41], v[121:122], v[117:118]
	v_fma_f64 v[74:75], v[74:75], v[137:138], -v[119:120]
	v_fma_f64 v[119:120], v[145:146], v[133:134], -v[115:116]
	v_add_f64 v[64:65], v[64:65], v[48:49]
	v_fma_f64 v[28:29], v[28:29], v[125:126], v[96:97]
	v_fma_f64 v[125:126], v[34:35], v[129:130], v[70:71]
	;; [unrolled: 1-line block ×3, first 2 shown]
	v_add_f64 v[96:97], v[38:39], -v[123:124]
	s_waitcnt lgkmcnt(0)
	v_fma_f64 v[115:116], v[40:41], -0.5, v[101:102]
	v_add_f64 v[70:71], v[74:75], -v[121:122]
	v_add_f64 v[48:49], v[74:75], v[119:120]
	v_add_f64 v[127:128], v[119:120], -v[117:118]
	v_fma_f64 v[34:35], v[92:93], s[16:17], v[109:110]
	v_add_f64 v[92:93], v[28:29], -v[125:126]
	v_add_f64 v[64:65], v[64:65], v[94:95]
	v_fma_f64 v[40:41], v[113:114], s[16:17], v[111:112]
	v_fma_f64 v[94:95], v[96:97], s[10:11], v[115:116]
	;; [unrolled: 1-line block ×3, first 2 shown]
	v_fma_f64 v[109:110], v[48:49], -0.5, v[101:102]
	v_fma_f64 v[48:49], v[113:114], s[16:17], v[98:99]
	v_add_f64 v[98:99], v[70:71], v[127:128]
	v_add_f64 v[113:114], v[121:122], -v[74:75]
	v_add_f64 v[115:116], v[117:118], -v[119:120]
	v_add_f64 v[101:102], v[121:122], v[101:102]
	v_fma_f64 v[94:95], v[92:93], s[6:7], v[94:95]
	v_add_f64 v[70:71], v[64:65], v[90:91]
	v_fma_f64 v[127:128], v[92:93], s[4:5], v[109:110]
	v_fma_f64 v[109:110], v[92:93], s[10:11], v[109:110]
	;; [unrolled: 1-line block ×3, first 2 shown]
	v_add_f64 v[90:91], v[28:29], v[125:126]
	v_add_f64 v[113:114], v[113:114], v[115:116]
	;; [unrolled: 1-line block ×3, first 2 shown]
	v_fma_f64 v[92:93], v[98:99], s[16:17], v[94:95]
	v_add_f64 v[94:95], v[38:39], v[123:124]
	v_fma_f64 v[111:112], v[96:97], s[6:7], v[127:128]
	v_fma_f64 v[109:110], v[96:97], s[14:15], v[109:110]
	;; [unrolled: 1-line block ×3, first 2 shown]
	v_fma_f64 v[64:65], v[90:91], -0.5, v[84:85]
	v_add_f64 v[74:75], v[74:75], -v[119:120]
	v_add_f64 v[90:91], v[119:120], v[101:102]
	v_add_f64 v[98:99], v[121:122], -v[117:118]
	v_fma_f64 v[94:95], v[94:95], -0.5, v[84:85]
	v_add_f64 v[84:85], v[84:85], v[28:29]
	v_fma_f64 v[111:112], v[113:114], s[16:17], v[111:112]
	v_fma_f64 v[115:116], v[113:114], s[16:17], v[109:110]
	v_add_f64 v[101:102], v[38:39], -v[28:29]
	v_add_f64 v[109:110], v[123:124], -v[125:126]
	v_fma_f64 v[113:114], v[74:75], s[4:5], v[64:65]
	v_fma_f64 v[64:65], v[74:75], s[10:11], v[64:65]
	v_add_f64 v[28:29], v[28:29], -v[38:39]
	v_add_f64 v[121:122], v[125:126], -v[123:124]
	v_add_f64 v[38:39], v[38:39], v[84:85]
	v_fma_f64 v[127:128], v[98:99], s[10:11], v[94:95]
	v_fma_f64 v[94:95], v[98:99], s[4:5], v[94:95]
	v_add_f64 v[101:102], v[101:102], v[109:110]
	v_fma_f64 v[84:85], v[98:99], s[14:15], v[113:114]
	v_fma_f64 v[64:65], v[98:99], s[6:7], v[64:65]
	v_add_f64 v[119:120], v[117:118], v[90:91]
	v_add_f64 v[28:29], v[28:29], v[121:122]
	v_mad_u64_u32 v[121:122], s[0:1], s2, v106, 0
	v_add_f64 v[38:39], v[38:39], v[123:124]
	v_fma_f64 v[98:99], v[74:75], s[14:15], v[127:128]
	v_fma_f64 v[74:75], v[74:75], s[6:7], v[94:95]
	;; [unrolled: 1-line block ×3, first 2 shown]
	v_mov_b32_e32 v64, v122
	v_mad_u64_u32 v[64:65], s[0:1], s3, v106, v[64:65]
	v_fma_f64 v[90:91], v[101:102], s[16:17], v[84:85]
	v_add_f64 v[117:118], v[38:39], v[125:126]
	v_mov_b32_e32 v122, v64
	v_add_u32_e32 v64, 0x145, v106
	v_mad_u64_u32 v[38:39], s[0:1], s2, v64, 0
	v_fma_f64 v[109:110], v[28:29], s[16:17], v[98:99]
	v_fma_f64 v[113:114], v[28:29], s[16:17], v[74:75]
	v_mad_u64_u32 v[64:65], s[0:1], s3, v64, v[39:40]
	v_mov_b32_e32 v28, s13
	v_add_co_u32_e32 v84, vcc, s12, v104
	v_add_u32_e32 v65, 0x28a, v106
	v_addc_co_u32_e32 v85, vcc, v28, v105, vcc
	v_lshlrev_b64 v[28:29], 4, v[121:122]
	v_mad_u64_u32 v[74:75], s[0:1], s2, v65, 0
	v_add_co_u32_e32 v28, vcc, v84, v28
	v_addc_co_u32_e32 v29, vcc, v85, v29, vcc
	v_mov_b32_e32 v39, v64
	global_store_dwordx4 v[28:29], v[117:120], off
	v_lshlrev_b64 v[28:29], 4, v[38:39]
	v_mov_b32_e32 v38, v75
	v_mad_u64_u32 v[38:39], s[0:1], s3, v65, v[38:39]
	v_add_u32_e32 v64, 0x3cf, v106
	v_add_co_u32_e32 v28, vcc, v84, v28
	v_mov_b32_e32 v75, v38
	v_mad_u64_u32 v[38:39], s[0:1], s2, v64, 0
	v_addc_co_u32_e32 v29, vcc, v85, v29, vcc
	v_mad_u64_u32 v[64:65], s[0:1], s3, v64, v[39:40]
	v_add_u32_e32 v65, 0x514, v106
	global_store_dwordx4 v[28:29], v[113:116], off
	v_lshlrev_b64 v[28:29], 4, v[74:75]
	v_mad_u64_u32 v[74:75], s[0:1], s2, v65, 0
	v_add_co_u32_e32 v28, vcc, v84, v28
	v_addc_co_u32_e32 v29, vcc, v85, v29, vcc
	v_mov_b32_e32 v39, v64
	global_store_dwordx4 v[28:29], v[94:97], off
	v_lshlrev_b64 v[28:29], 4, v[38:39]
	v_mov_b32_e32 v38, v75
	v_mad_u64_u32 v[38:39], s[0:1], s3, v65, v[38:39]
	v_add_co_u32_e32 v28, vcc, v84, v28
	v_mov_b32_e32 v75, v38
	v_mad_u64_u32 v[38:39], s[4:5], s2, v100, 0
	v_addc_co_u32_e32 v29, vcc, v85, v29, vcc
	v_mad_u64_u32 v[64:65], s[4:5], s3, v100, v[39:40]
	v_add_u32_e32 v65, 0x186, v106
	global_store_dwordx4 v[28:29], v[90:93], off
	v_lshlrev_b64 v[28:29], 4, v[74:75]
	v_mad_u64_u32 v[74:75], s[4:5], s2, v65, 0
	v_add_co_u32_e32 v28, vcc, v84, v28
	v_addc_co_u32_e32 v29, vcc, v85, v29, vcc
	v_mov_b32_e32 v39, v64
	global_store_dwordx4 v[28:29], v[109:112], off
	v_lshlrev_b64 v[28:29], 4, v[38:39]
	v_mov_b32_e32 v38, v75
	v_mad_u64_u32 v[38:39], s[4:5], s3, v65, v[38:39]
	v_add_f64 v[72:73], v[149:150], v[72:73]
	v_add_u32_e32 v64, 0x2cb, v106
	v_mov_b32_e32 v75, v38
	v_mad_u64_u32 v[38:39], s[4:5], s2, v64, 0
	v_add_co_u32_e32 v28, vcc, v84, v28
	v_addc_co_u32_e32 v29, vcc, v85, v29, vcc
	v_mad_u64_u32 v[64:65], s[4:5], s3, v64, v[39:40]
	global_store_dwordx4 v[28:29], v[70:73], off
	v_lshlrev_b64 v[28:29], 4, v[74:75]
	v_mov_b32_e32 v39, v64
	v_add_co_u32_e32 v28, vcc, v84, v28
	v_addc_co_u32_e32 v29, vcc, v85, v29, vcc
	global_store_dwordx4 v[28:29], v[48:51], off
	v_lshlrev_b64 v[28:29], 4, v[38:39]
	v_add_u32_e32 v65, 0x410, v106
	v_mad_u64_u32 v[70:71], s[4:5], s2, v65, 0
	v_add_co_u32_e32 v28, vcc, v84, v28
	v_addc_co_u32_e32 v29, vcc, v85, v29, vcc
	global_store_dwordx4 v[28:29], v[34:37], off
	s_mov_b32 s1, 0xc9a633fd
	v_add_u32_e32 v36, 0x555, v106
	v_mad_u64_u32 v[34:35], s[4:5], s2, v36, 0
	v_mov_b32_e32 v38, v71
	v_mul_hi_u32 v37, v108, s1
	v_mad_u64_u32 v[38:39], s[4:5], s3, v65, v[38:39]
	v_mad_u64_u32 v[35:36], s[4:5], s3, v36, v[35:36]
	s_movk_i32 s0, 0x514
	v_lshrrev_b32_e32 v36, 8, v37
	v_mov_b32_e32 v71, v38
	v_mad_u32_u24 v38, v36, s0, v108
	v_lshlrev_b64 v[28:29], 4, v[70:71]
	v_mad_u64_u32 v[36:37], s[4:5], s2, v38, 0
	v_add_co_u32_e32 v28, vcc, v84, v28
	v_addc_co_u32_e32 v29, vcc, v85, v29, vcc
	global_store_dwordx4 v[28:29], v[86:89], off
	v_lshlrev_b64 v[28:29], 4, v[34:35]
	v_mov_b32_e32 v34, v37
	v_mad_u64_u32 v[34:35], s[4:5], s3, v38, v[34:35]
	v_add_co_u32_e32 v28, vcc, v84, v28
	v_addc_co_u32_e32 v29, vcc, v85, v29, vcc
	v_mov_b32_e32 v37, v34
	global_store_dwordx4 v[28:29], v[40:43], off
	v_lshlrev_b64 v[28:29], 4, v[36:37]
	v_add_u32_e32 v36, 0x145, v38
	v_mad_u64_u32 v[34:35], s[4:5], s2, v36, 0
	v_add_u32_e32 v39, 0x28a, v38
	v_add_co_u32_e32 v28, vcc, v84, v28
	v_mad_u64_u32 v[35:36], s[4:5], s3, v36, v[35:36]
	v_mad_u64_u32 v[36:37], s[4:5], s2, v39, 0
	v_addc_co_u32_e32 v29, vcc, v85, v29, vcc
	global_store_dwordx4 v[28:29], v[80:83], off
	v_lshlrev_b64 v[28:29], 4, v[34:35]
	v_mov_b32_e32 v34, v37
	v_mad_u64_u32 v[34:35], s[4:5], s3, v39, v[34:35]
	v_add_co_u32_e32 v28, vcc, v84, v28
	v_addc_co_u32_e32 v29, vcc, v85, v29, vcc
	v_mov_b32_e32 v37, v34
	global_store_dwordx4 v[28:29], v[60:63], off
	v_lshlrev_b64 v[28:29], 4, v[36:37]
	v_add_u32_e32 v36, 0x3cf, v38
	v_mad_u64_u32 v[34:35], s[4:5], s2, v36, 0
	v_add_u32_e32 v38, 0x514, v38
	v_add_co_u32_e32 v28, vcc, v84, v28
	v_mad_u64_u32 v[35:36], s[4:5], s3, v36, v[35:36]
	v_mad_u64_u32 v[36:37], s[4:5], s2, v38, 0
	v_addc_co_u32_e32 v29, vcc, v85, v29, vcc
	global_store_dwordx4 v[28:29], v[76:79], off
	v_lshlrev_b64 v[28:29], 4, v[34:35]
	v_mov_b32_e32 v34, v37
	v_mad_u64_u32 v[34:35], s[4:5], s3, v38, v[34:35]
	v_mul_hi_u32 v35, v107, s1
	v_add_co_u32_e32 v28, vcc, v84, v28
	v_mov_b32_e32 v37, v34
	v_lshrrev_b32_e32 v34, 8, v35
	v_mad_u32_u24 v38, v34, s0, v107
	v_mad_u64_u32 v[34:35], s[4:5], s2, v38, 0
	v_addc_co_u32_e32 v29, vcc, v85, v29, vcc
	global_store_dwordx4 v[28:29], v[66:69], off
	v_lshlrev_b64 v[28:29], 4, v[36:37]
	v_mad_u64_u32 v[35:36], s[4:5], s3, v38, v[35:36]
	v_add_u32_e32 v39, 0x145, v38
	v_mad_u64_u32 v[36:37], s[4:5], s2, v39, 0
	v_add_co_u32_e32 v28, vcc, v84, v28
	v_addc_co_u32_e32 v29, vcc, v85, v29, vcc
	global_store_dwordx4 v[28:29], v[30:33], off
	v_lshlrev_b64 v[28:29], 4, v[34:35]
	v_mov_b32_e32 v30, v37
	v_mad_u64_u32 v[30:31], s[4:5], s3, v39, v[30:31]
	v_add_u32_e32 v32, 0x28a, v38
	v_add_co_u32_e32 v28, vcc, v84, v28
	v_mov_b32_e32 v37, v30
	v_mad_u64_u32 v[30:31], s[4:5], s2, v32, 0
	v_addc_co_u32_e32 v29, vcc, v85, v29, vcc
	v_mad_u64_u32 v[31:32], s[4:5], s3, v32, v[31:32]
	v_add_u32_e32 v34, 0x3cf, v38
	global_store_dwordx4 v[28:29], v[56:59], off
	v_lshlrev_b64 v[28:29], 4, v[36:37]
	v_mad_u64_u32 v[32:33], s[4:5], s2, v34, 0
	v_add_co_u32_e32 v28, vcc, v84, v28
	v_addc_co_u32_e32 v29, vcc, v85, v29, vcc
	global_store_dwordx4 v[28:29], v[52:55], off
	v_lshlrev_b64 v[28:29], 4, v[30:31]
	v_mov_b32_e32 v30, v33
	v_mad_u64_u32 v[30:31], s[4:5], s3, v34, v[30:31]
	v_add_co_u32_e32 v28, vcc, v84, v28
	v_addc_co_u32_e32 v29, vcc, v85, v29, vcc
	v_mov_b32_e32 v33, v30
	global_store_dwordx4 v[28:29], v[44:47], off
	v_lshlrev_b64 v[28:29], 4, v[32:33]
	v_add_u32_e32 v32, 0x514, v38
	v_mad_u64_u32 v[30:31], s[4:5], s2, v32, 0
	v_mul_hi_u32 v33, v103, s1
	v_add_co_u32_e32 v28, vcc, v84, v28
	v_mad_u64_u32 v[31:32], s[4:5], s3, v32, v[31:32]
	v_lshrrev_b32_e32 v32, 8, v33
	v_mad_u32_u24 v34, v32, s0, v103
	v_addc_co_u32_e32 v29, vcc, v85, v29, vcc
	v_mad_u64_u32 v[32:33], s[0:1], s2, v34, 0
	global_store_dwordx4 v[28:29], v[24:27], off
	s_nop 0
	v_lshlrev_b64 v[24:25], 4, v[30:31]
	v_mov_b32_e32 v26, v33
	v_add_co_u32_e32 v24, vcc, v84, v24
	v_addc_co_u32_e32 v25, vcc, v85, v25, vcc
	v_mad_u64_u32 v[26:27], s[0:1], s3, v34, v[26:27]
	global_store_dwordx4 v[24:25], v[20:23], off
	v_add_u32_e32 v24, 0x145, v34
	v_mad_u64_u32 v[22:23], s[0:1], s2, v24, 0
	v_mov_b32_e32 v33, v26
	v_lshlrev_b64 v[20:21], 4, v[32:33]
	v_mad_u64_u32 v[23:24], s[0:1], s3, v24, v[23:24]
	v_add_co_u32_e32 v20, vcc, v84, v20
	v_addc_co_u32_e32 v21, vcc, v85, v21, vcc
	v_add_u32_e32 v26, 0x28a, v34
	v_mad_u64_u32 v[24:25], s[0:1], s2, v26, 0
	global_store_dwordx4 v[20:21], v[16:19], off
	s_nop 0
	v_lshlrev_b64 v[16:17], 4, v[22:23]
	v_mov_b32_e32 v18, v25
	v_add_co_u32_e32 v16, vcc, v84, v16
	v_addc_co_u32_e32 v17, vcc, v85, v17, vcc
	global_store_dwordx4 v[16:17], v[12:15], off
	v_add_u32_e32 v16, 0x3cf, v34
	v_mad_u64_u32 v[18:19], s[0:1], s3, v26, v[18:19]
	v_mad_u64_u32 v[14:15], s[0:1], s2, v16, 0
	v_mov_b32_e32 v25, v18
	v_add_u32_e32 v18, 0x514, v34
	v_mad_u64_u32 v[15:16], s[0:1], s3, v16, v[15:16]
	v_lshlrev_b64 v[12:13], 4, v[24:25]
	v_mad_u64_u32 v[16:17], s[0:1], s2, v18, 0
	v_add_co_u32_e32 v12, vcc, v84, v12
	v_addc_co_u32_e32 v13, vcc, v85, v13, vcc
	global_store_dwordx4 v[12:13], v[8:11], off
	s_nop 0
	v_mov_b32_e32 v10, v17
	v_mad_u64_u32 v[10:11], s[0:1], s3, v18, v[10:11]
	v_lshlrev_b64 v[8:9], 4, v[14:15]
	v_add_co_u32_e32 v8, vcc, v84, v8
	v_addc_co_u32_e32 v9, vcc, v85, v9, vcc
	v_mov_b32_e32 v17, v10
	global_store_dwordx4 v[8:9], v[4:7], off
	s_nop 0
	v_lshlrev_b64 v[4:5], 4, v[16:17]
	v_add_co_u32_e32 v4, vcc, v84, v4
	v_addc_co_u32_e32 v5, vcc, v85, v5, vcc
	global_store_dwordx4 v[4:5], v[0:3], off
.LBB0_19:
	s_endpgm
	.section	.rodata,"a",@progbits
	.p2align	6, 0x0
	.amdhsa_kernel fft_rtc_back_len1625_factors_13_5_5_5_wgs_130_tpt_65_halfLds_dp_ip_CI_sbrr_dirReg
		.amdhsa_group_segment_fixed_size 0
		.amdhsa_private_segment_fixed_size 0
		.amdhsa_kernarg_size 88
		.amdhsa_user_sgpr_count 6
		.amdhsa_user_sgpr_private_segment_buffer 1
		.amdhsa_user_sgpr_dispatch_ptr 0
		.amdhsa_user_sgpr_queue_ptr 0
		.amdhsa_user_sgpr_kernarg_segment_ptr 1
		.amdhsa_user_sgpr_dispatch_id 0
		.amdhsa_user_sgpr_flat_scratch_init 0
		.amdhsa_user_sgpr_private_segment_size 0
		.amdhsa_uses_dynamic_stack 0
		.amdhsa_system_sgpr_private_segment_wavefront_offset 0
		.amdhsa_system_sgpr_workgroup_id_x 1
		.amdhsa_system_sgpr_workgroup_id_y 0
		.amdhsa_system_sgpr_workgroup_id_z 0
		.amdhsa_system_sgpr_workgroup_info 0
		.amdhsa_system_vgpr_workitem_id 0
		.amdhsa_next_free_vgpr 229
		.amdhsa_next_free_sgpr 48
		.amdhsa_reserve_vcc 1
		.amdhsa_reserve_flat_scratch 0
		.amdhsa_float_round_mode_32 0
		.amdhsa_float_round_mode_16_64 0
		.amdhsa_float_denorm_mode_32 3
		.amdhsa_float_denorm_mode_16_64 3
		.amdhsa_dx10_clamp 1
		.amdhsa_ieee_mode 1
		.amdhsa_fp16_overflow 0
		.amdhsa_exception_fp_ieee_invalid_op 0
		.amdhsa_exception_fp_denorm_src 0
		.amdhsa_exception_fp_ieee_div_zero 0
		.amdhsa_exception_fp_ieee_overflow 0
		.amdhsa_exception_fp_ieee_underflow 0
		.amdhsa_exception_fp_ieee_inexact 0
		.amdhsa_exception_int_div_zero 0
	.end_amdhsa_kernel
	.text
.Lfunc_end0:
	.size	fft_rtc_back_len1625_factors_13_5_5_5_wgs_130_tpt_65_halfLds_dp_ip_CI_sbrr_dirReg, .Lfunc_end0-fft_rtc_back_len1625_factors_13_5_5_5_wgs_130_tpt_65_halfLds_dp_ip_CI_sbrr_dirReg
                                        ; -- End function
	.section	.AMDGPU.csdata,"",@progbits
; Kernel info:
; codeLenInByte = 22816
; NumSgprs: 52
; NumVgprs: 229
; ScratchSize: 0
; MemoryBound: 1
; FloatMode: 240
; IeeeMode: 1
; LDSByteSize: 0 bytes/workgroup (compile time only)
; SGPRBlocks: 6
; VGPRBlocks: 57
; NumSGPRsForWavesPerEU: 52
; NumVGPRsForWavesPerEU: 229
; Occupancy: 1
; WaveLimiterHint : 1
; COMPUTE_PGM_RSRC2:SCRATCH_EN: 0
; COMPUTE_PGM_RSRC2:USER_SGPR: 6
; COMPUTE_PGM_RSRC2:TRAP_HANDLER: 0
; COMPUTE_PGM_RSRC2:TGID_X_EN: 1
; COMPUTE_PGM_RSRC2:TGID_Y_EN: 0
; COMPUTE_PGM_RSRC2:TGID_Z_EN: 0
; COMPUTE_PGM_RSRC2:TIDIG_COMP_CNT: 0
	.type	__hip_cuid_9a65b1384bfde39c,@object ; @__hip_cuid_9a65b1384bfde39c
	.section	.bss,"aw",@nobits
	.globl	__hip_cuid_9a65b1384bfde39c
__hip_cuid_9a65b1384bfde39c:
	.byte	0                               ; 0x0
	.size	__hip_cuid_9a65b1384bfde39c, 1

	.ident	"AMD clang version 19.0.0git (https://github.com/RadeonOpenCompute/llvm-project roc-6.4.0 25133 c7fe45cf4b819c5991fe208aaa96edf142730f1d)"
	.section	".note.GNU-stack","",@progbits
	.addrsig
	.addrsig_sym __hip_cuid_9a65b1384bfde39c
	.amdgpu_metadata
---
amdhsa.kernels:
  - .args:
      - .actual_access:  read_only
        .address_space:  global
        .offset:         0
        .size:           8
        .value_kind:     global_buffer
      - .offset:         8
        .size:           8
        .value_kind:     by_value
      - .actual_access:  read_only
        .address_space:  global
        .offset:         16
        .size:           8
        .value_kind:     global_buffer
      - .actual_access:  read_only
        .address_space:  global
        .offset:         24
        .size:           8
        .value_kind:     global_buffer
      - .offset:         32
        .size:           8
        .value_kind:     by_value
      - .actual_access:  read_only
        .address_space:  global
        .offset:         40
        .size:           8
        .value_kind:     global_buffer
      - .actual_access:  read_only
        .address_space:  global
        .offset:         48
        .size:           8
        .value_kind:     global_buffer
      - .offset:         56
        .size:           4
        .value_kind:     by_value
      - .actual_access:  read_only
        .address_space:  global
        .offset:         64
        .size:           8
        .value_kind:     global_buffer
      - .actual_access:  read_only
        .address_space:  global
        .offset:         72
        .size:           8
        .value_kind:     global_buffer
      - .address_space:  global
        .offset:         80
        .size:           8
        .value_kind:     global_buffer
    .group_segment_fixed_size: 0
    .kernarg_segment_align: 8
    .kernarg_segment_size: 88
    .language:       OpenCL C
    .language_version:
      - 2
      - 0
    .max_flat_workgroup_size: 130
    .name:           fft_rtc_back_len1625_factors_13_5_5_5_wgs_130_tpt_65_halfLds_dp_ip_CI_sbrr_dirReg
    .private_segment_fixed_size: 0
    .sgpr_count:     52
    .sgpr_spill_count: 0
    .symbol:         fft_rtc_back_len1625_factors_13_5_5_5_wgs_130_tpt_65_halfLds_dp_ip_CI_sbrr_dirReg.kd
    .uniform_work_group_size: 1
    .uses_dynamic_stack: false
    .vgpr_count:     229
    .vgpr_spill_count: 0
    .wavefront_size: 64
amdhsa.target:   amdgcn-amd-amdhsa--gfx906
amdhsa.version:
  - 1
  - 2
...

	.end_amdgpu_metadata
